;; amdgpu-corpus repo=ROCm/rocFFT kind=compiled arch=gfx1100 opt=O3
	.text
	.amdgcn_target "amdgcn-amd-amdhsa--gfx1100"
	.amdhsa_code_object_version 6
	.protected	fft_rtc_back_len1400_factors_2_2_2_5_7_5_wgs_56_tpt_56_halfLds_dp_ip_CI_unitstride_sbrr_R2C_dirReg ; -- Begin function fft_rtc_back_len1400_factors_2_2_2_5_7_5_wgs_56_tpt_56_halfLds_dp_ip_CI_unitstride_sbrr_R2C_dirReg
	.globl	fft_rtc_back_len1400_factors_2_2_2_5_7_5_wgs_56_tpt_56_halfLds_dp_ip_CI_unitstride_sbrr_R2C_dirReg
	.p2align	8
	.type	fft_rtc_back_len1400_factors_2_2_2_5_7_5_wgs_56_tpt_56_halfLds_dp_ip_CI_unitstride_sbrr_R2C_dirReg,@function
fft_rtc_back_len1400_factors_2_2_2_5_7_5_wgs_56_tpt_56_halfLds_dp_ip_CI_unitstride_sbrr_R2C_dirReg: ; @fft_rtc_back_len1400_factors_2_2_2_5_7_5_wgs_56_tpt_56_halfLds_dp_ip_CI_unitstride_sbrr_R2C_dirReg
; %bb.0:
	s_clause 0x2
	s_load_b128 s[4:7], s[0:1], 0x0
	s_load_b64 s[8:9], s[0:1], 0x50
	s_load_b64 s[10:11], s[0:1], 0x18
	v_mul_u32_u24_e32 v1, 0x493, v0
	v_mov_b32_e32 v3, 0
	s_delay_alu instid0(VALU_DEP_2) | instskip(NEXT) | instid1(VALU_DEP_1)
	v_lshrrev_b32_e32 v1, 16, v1
	v_add_nc_u32_e32 v5, s15, v1
	v_mov_b32_e32 v1, 0
	v_mov_b32_e32 v2, 0
	;; [unrolled: 1-line block ×3, first 2 shown]
	s_waitcnt lgkmcnt(0)
	v_cmp_lt_u64_e64 s2, s[6:7], 2
	s_delay_alu instid0(VALU_DEP_1)
	s_and_b32 vcc_lo, exec_lo, s2
	s_cbranch_vccnz .LBB0_8
; %bb.1:
	s_load_b64 s[2:3], s[0:1], 0x10
	v_mov_b32_e32 v1, 0
	s_add_u32 s12, s10, 8
	v_mov_b32_e32 v2, 0
	s_addc_u32 s13, s11, 0
	s_mov_b64 s[16:17], 1
	s_waitcnt lgkmcnt(0)
	s_add_u32 s14, s2, 8
	s_addc_u32 s15, s3, 0
.LBB0_2:                                ; =>This Inner Loop Header: Depth=1
	s_load_b64 s[18:19], s[14:15], 0x0
                                        ; implicit-def: $vgpr7_vgpr8
	s_mov_b32 s2, exec_lo
	s_waitcnt lgkmcnt(0)
	v_or_b32_e32 v4, s19, v6
	s_delay_alu instid0(VALU_DEP_1)
	v_cmpx_ne_u64_e32 0, v[3:4]
	s_xor_b32 s3, exec_lo, s2
	s_cbranch_execz .LBB0_4
; %bb.3:                                ;   in Loop: Header=BB0_2 Depth=1
	v_cvt_f32_u32_e32 v4, s18
	v_cvt_f32_u32_e32 v7, s19
	s_sub_u32 s2, 0, s18
	s_subb_u32 s20, 0, s19
	s_delay_alu instid0(VALU_DEP_1) | instskip(NEXT) | instid1(VALU_DEP_1)
	v_fmac_f32_e32 v4, 0x4f800000, v7
	v_rcp_f32_e32 v4, v4
	s_waitcnt_depctr 0xfff
	v_mul_f32_e32 v4, 0x5f7ffffc, v4
	s_delay_alu instid0(VALU_DEP_1) | instskip(NEXT) | instid1(VALU_DEP_1)
	v_mul_f32_e32 v7, 0x2f800000, v4
	v_trunc_f32_e32 v7, v7
	s_delay_alu instid0(VALU_DEP_1) | instskip(SKIP_1) | instid1(VALU_DEP_2)
	v_fmac_f32_e32 v4, 0xcf800000, v7
	v_cvt_u32_f32_e32 v7, v7
	v_cvt_u32_f32_e32 v4, v4
	s_delay_alu instid0(VALU_DEP_2) | instskip(NEXT) | instid1(VALU_DEP_2)
	v_mul_lo_u32 v8, s2, v7
	v_mul_hi_u32 v9, s2, v4
	v_mul_lo_u32 v10, s20, v4
	s_delay_alu instid0(VALU_DEP_2) | instskip(SKIP_1) | instid1(VALU_DEP_2)
	v_add_nc_u32_e32 v8, v9, v8
	v_mul_lo_u32 v9, s2, v4
	v_add_nc_u32_e32 v8, v8, v10
	s_delay_alu instid0(VALU_DEP_2) | instskip(NEXT) | instid1(VALU_DEP_2)
	v_mul_hi_u32 v10, v4, v9
	v_mul_lo_u32 v11, v4, v8
	v_mul_hi_u32 v12, v4, v8
	v_mul_hi_u32 v13, v7, v9
	v_mul_lo_u32 v9, v7, v9
	v_mul_hi_u32 v14, v7, v8
	v_mul_lo_u32 v8, v7, v8
	v_add_co_u32 v10, vcc_lo, v10, v11
	v_add_co_ci_u32_e32 v11, vcc_lo, 0, v12, vcc_lo
	s_delay_alu instid0(VALU_DEP_2) | instskip(NEXT) | instid1(VALU_DEP_2)
	v_add_co_u32 v9, vcc_lo, v10, v9
	v_add_co_ci_u32_e32 v9, vcc_lo, v11, v13, vcc_lo
	v_add_co_ci_u32_e32 v10, vcc_lo, 0, v14, vcc_lo
	s_delay_alu instid0(VALU_DEP_2) | instskip(NEXT) | instid1(VALU_DEP_2)
	v_add_co_u32 v8, vcc_lo, v9, v8
	v_add_co_ci_u32_e32 v9, vcc_lo, 0, v10, vcc_lo
	s_delay_alu instid0(VALU_DEP_2) | instskip(NEXT) | instid1(VALU_DEP_2)
	v_add_co_u32 v4, vcc_lo, v4, v8
	v_add_co_ci_u32_e32 v7, vcc_lo, v7, v9, vcc_lo
	s_delay_alu instid0(VALU_DEP_2) | instskip(SKIP_1) | instid1(VALU_DEP_3)
	v_mul_hi_u32 v8, s2, v4
	v_mul_lo_u32 v10, s20, v4
	v_mul_lo_u32 v9, s2, v7
	s_delay_alu instid0(VALU_DEP_1) | instskip(SKIP_1) | instid1(VALU_DEP_2)
	v_add_nc_u32_e32 v8, v8, v9
	v_mul_lo_u32 v9, s2, v4
	v_add_nc_u32_e32 v8, v8, v10
	s_delay_alu instid0(VALU_DEP_2) | instskip(NEXT) | instid1(VALU_DEP_2)
	v_mul_hi_u32 v10, v4, v9
	v_mul_lo_u32 v11, v4, v8
	v_mul_hi_u32 v12, v4, v8
	v_mul_hi_u32 v13, v7, v9
	v_mul_lo_u32 v9, v7, v9
	v_mul_hi_u32 v14, v7, v8
	v_mul_lo_u32 v8, v7, v8
	v_add_co_u32 v10, vcc_lo, v10, v11
	v_add_co_ci_u32_e32 v11, vcc_lo, 0, v12, vcc_lo
	s_delay_alu instid0(VALU_DEP_2) | instskip(NEXT) | instid1(VALU_DEP_2)
	v_add_co_u32 v9, vcc_lo, v10, v9
	v_add_co_ci_u32_e32 v9, vcc_lo, v11, v13, vcc_lo
	v_add_co_ci_u32_e32 v10, vcc_lo, 0, v14, vcc_lo
	s_delay_alu instid0(VALU_DEP_2) | instskip(NEXT) | instid1(VALU_DEP_2)
	v_add_co_u32 v8, vcc_lo, v9, v8
	v_add_co_ci_u32_e32 v9, vcc_lo, 0, v10, vcc_lo
	s_delay_alu instid0(VALU_DEP_2) | instskip(NEXT) | instid1(VALU_DEP_2)
	v_add_co_u32 v4, vcc_lo, v4, v8
	v_add_co_ci_u32_e32 v13, vcc_lo, v7, v9, vcc_lo
	s_delay_alu instid0(VALU_DEP_2) | instskip(SKIP_1) | instid1(VALU_DEP_3)
	v_mul_hi_u32 v14, v5, v4
	v_mad_u64_u32 v[9:10], null, v6, v4, 0
	v_mad_u64_u32 v[7:8], null, v5, v13, 0
	;; [unrolled: 1-line block ×3, first 2 shown]
	s_delay_alu instid0(VALU_DEP_2) | instskip(NEXT) | instid1(VALU_DEP_3)
	v_add_co_u32 v4, vcc_lo, v14, v7
	v_add_co_ci_u32_e32 v7, vcc_lo, 0, v8, vcc_lo
	s_delay_alu instid0(VALU_DEP_2) | instskip(NEXT) | instid1(VALU_DEP_2)
	v_add_co_u32 v4, vcc_lo, v4, v9
	v_add_co_ci_u32_e32 v4, vcc_lo, v7, v10, vcc_lo
	v_add_co_ci_u32_e32 v7, vcc_lo, 0, v12, vcc_lo
	s_delay_alu instid0(VALU_DEP_2) | instskip(NEXT) | instid1(VALU_DEP_2)
	v_add_co_u32 v4, vcc_lo, v4, v11
	v_add_co_ci_u32_e32 v9, vcc_lo, 0, v7, vcc_lo
	s_delay_alu instid0(VALU_DEP_2) | instskip(SKIP_1) | instid1(VALU_DEP_3)
	v_mul_lo_u32 v10, s19, v4
	v_mad_u64_u32 v[7:8], null, s18, v4, 0
	v_mul_lo_u32 v11, s18, v9
	s_delay_alu instid0(VALU_DEP_2) | instskip(NEXT) | instid1(VALU_DEP_2)
	v_sub_co_u32 v7, vcc_lo, v5, v7
	v_add3_u32 v8, v8, v11, v10
	s_delay_alu instid0(VALU_DEP_1) | instskip(NEXT) | instid1(VALU_DEP_1)
	v_sub_nc_u32_e32 v10, v6, v8
	v_subrev_co_ci_u32_e64 v10, s2, s19, v10, vcc_lo
	v_add_co_u32 v11, s2, v4, 2
	s_delay_alu instid0(VALU_DEP_1) | instskip(SKIP_3) | instid1(VALU_DEP_3)
	v_add_co_ci_u32_e64 v12, s2, 0, v9, s2
	v_sub_co_u32 v13, s2, v7, s18
	v_sub_co_ci_u32_e32 v8, vcc_lo, v6, v8, vcc_lo
	v_subrev_co_ci_u32_e64 v10, s2, 0, v10, s2
	v_cmp_le_u32_e32 vcc_lo, s18, v13
	s_delay_alu instid0(VALU_DEP_3) | instskip(SKIP_1) | instid1(VALU_DEP_4)
	v_cmp_eq_u32_e64 s2, s19, v8
	v_cndmask_b32_e64 v13, 0, -1, vcc_lo
	v_cmp_le_u32_e32 vcc_lo, s19, v10
	v_cndmask_b32_e64 v14, 0, -1, vcc_lo
	v_cmp_le_u32_e32 vcc_lo, s18, v7
	;; [unrolled: 2-line block ×3, first 2 shown]
	v_cndmask_b32_e64 v15, 0, -1, vcc_lo
	v_cmp_eq_u32_e32 vcc_lo, s19, v10
	s_delay_alu instid0(VALU_DEP_2) | instskip(SKIP_3) | instid1(VALU_DEP_3)
	v_cndmask_b32_e64 v7, v15, v7, s2
	v_cndmask_b32_e32 v10, v14, v13, vcc_lo
	v_add_co_u32 v13, vcc_lo, v4, 1
	v_add_co_ci_u32_e32 v14, vcc_lo, 0, v9, vcc_lo
	v_cmp_ne_u32_e32 vcc_lo, 0, v10
	s_delay_alu instid0(VALU_DEP_2) | instskip(NEXT) | instid1(VALU_DEP_4)
	v_cndmask_b32_e32 v8, v14, v12, vcc_lo
	v_cndmask_b32_e32 v10, v13, v11, vcc_lo
	v_cmp_ne_u32_e32 vcc_lo, 0, v7
	s_delay_alu instid0(VALU_DEP_2)
	v_dual_cndmask_b32 v7, v4, v10 :: v_dual_cndmask_b32 v8, v9, v8
.LBB0_4:                                ;   in Loop: Header=BB0_2 Depth=1
	s_and_not1_saveexec_b32 s2, s3
	s_cbranch_execz .LBB0_6
; %bb.5:                                ;   in Loop: Header=BB0_2 Depth=1
	v_cvt_f32_u32_e32 v4, s18
	s_sub_i32 s3, 0, s18
	s_delay_alu instid0(VALU_DEP_1) | instskip(SKIP_2) | instid1(VALU_DEP_1)
	v_rcp_iflag_f32_e32 v4, v4
	s_waitcnt_depctr 0xfff
	v_mul_f32_e32 v4, 0x4f7ffffe, v4
	v_cvt_u32_f32_e32 v4, v4
	s_delay_alu instid0(VALU_DEP_1) | instskip(NEXT) | instid1(VALU_DEP_1)
	v_mul_lo_u32 v7, s3, v4
	v_mul_hi_u32 v7, v4, v7
	s_delay_alu instid0(VALU_DEP_1) | instskip(NEXT) | instid1(VALU_DEP_1)
	v_add_nc_u32_e32 v4, v4, v7
	v_mul_hi_u32 v4, v5, v4
	s_delay_alu instid0(VALU_DEP_1) | instskip(SKIP_1) | instid1(VALU_DEP_2)
	v_mul_lo_u32 v7, v4, s18
	v_add_nc_u32_e32 v8, 1, v4
	v_sub_nc_u32_e32 v7, v5, v7
	s_delay_alu instid0(VALU_DEP_1) | instskip(SKIP_1) | instid1(VALU_DEP_2)
	v_subrev_nc_u32_e32 v9, s18, v7
	v_cmp_le_u32_e32 vcc_lo, s18, v7
	v_dual_cndmask_b32 v7, v7, v9 :: v_dual_cndmask_b32 v4, v4, v8
	s_delay_alu instid0(VALU_DEP_1) | instskip(NEXT) | instid1(VALU_DEP_2)
	v_cmp_le_u32_e32 vcc_lo, s18, v7
	v_add_nc_u32_e32 v8, 1, v4
	s_delay_alu instid0(VALU_DEP_1)
	v_dual_cndmask_b32 v7, v4, v8 :: v_dual_mov_b32 v8, v3
.LBB0_6:                                ;   in Loop: Header=BB0_2 Depth=1
	s_or_b32 exec_lo, exec_lo, s2
	s_load_b64 s[2:3], s[12:13], 0x0
	s_delay_alu instid0(VALU_DEP_1) | instskip(NEXT) | instid1(VALU_DEP_2)
	v_mul_lo_u32 v4, v8, s18
	v_mul_lo_u32 v11, v7, s19
	v_mad_u64_u32 v[9:10], null, v7, s18, 0
	s_add_u32 s16, s16, 1
	s_addc_u32 s17, s17, 0
	s_add_u32 s12, s12, 8
	s_addc_u32 s13, s13, 0
	;; [unrolled: 2-line block ×3, first 2 shown]
	s_delay_alu instid0(VALU_DEP_1) | instskip(SKIP_1) | instid1(VALU_DEP_2)
	v_add3_u32 v4, v10, v11, v4
	v_sub_co_u32 v9, vcc_lo, v5, v9
	v_sub_co_ci_u32_e32 v4, vcc_lo, v6, v4, vcc_lo
	s_waitcnt lgkmcnt(0)
	s_delay_alu instid0(VALU_DEP_2) | instskip(NEXT) | instid1(VALU_DEP_2)
	v_mul_lo_u32 v10, s3, v9
	v_mul_lo_u32 v6, s2, v4
	v_mad_u64_u32 v[4:5], null, s2, v9, v[1:2]
	v_cmp_ge_u64_e64 s2, s[16:17], s[6:7]
	s_delay_alu instid0(VALU_DEP_1) | instskip(NEXT) | instid1(VALU_DEP_2)
	s_and_b32 vcc_lo, exec_lo, s2
	v_add3_u32 v2, v10, v5, v6
	s_delay_alu instid0(VALU_DEP_3)
	v_mov_b32_e32 v1, v4
	s_cbranch_vccnz .LBB0_9
; %bb.7:                                ;   in Loop: Header=BB0_2 Depth=1
	v_dual_mov_b32 v5, v7 :: v_dual_mov_b32 v6, v8
	s_branch .LBB0_2
.LBB0_8:
	v_dual_mov_b32 v8, v6 :: v_dual_mov_b32 v7, v5
.LBB0_9:
	s_lshl_b64 s[2:3], s[6:7], 3
	v_mul_hi_u32 v3, 0x4924925, v0
	s_add_u32 s2, s10, s2
	s_addc_u32 s3, s11, s3
	s_load_b64 s[0:1], s[0:1], 0x20
	s_load_b64 s[2:3], s[2:3], 0x0
                                        ; implicit-def: $vgpr139
	s_delay_alu instid0(VALU_DEP_1) | instskip(NEXT) | instid1(VALU_DEP_1)
	v_mul_u32_u24_e32 v3, 56, v3
	v_sub_nc_u32_e32 v120, v0, v3
	s_delay_alu instid0(VALU_DEP_1)
	v_add_nc_u32_e32 v130, 56, v120
	v_add_nc_u32_e32 v143, 0x70, v120
	;; [unrolled: 1-line block ×5, first 2 shown]
	s_waitcnt lgkmcnt(0)
	v_cmp_gt_u64_e32 vcc_lo, s[0:1], v[7:8]
	v_mul_lo_u32 v0, s2, v8
	v_mul_lo_u32 v5, s3, v7
	v_mad_u64_u32 v[3:4], null, s2, v7, v[1:2]
	v_cmp_le_u64_e64 s0, s[0:1], v[7:8]
	v_add_nc_u32_e32 v137, 0x150, v120
	v_add_nc_u32_e32 v136, 0x188, v120
	v_or_b32_e32 v1, 0x1c0, v120
	v_add_nc_u32_e32 v135, 0x1f8, v120
	v_add_nc_u32_e32 v134, 0x230, v120
	;; [unrolled: 1-line block ×3, first 2 shown]
	v_add3_u32 v4, v5, v4, v0
	v_add_nc_u32_e32 v0, 0x2a0, v120
	s_clause 0x1
	scratch_store_b64 off, v[1:2], off offset:8
	scratch_store_b64 off, v[0:1], off
	s_and_saveexec_b32 s1, s0
	s_delay_alu instid0(SALU_CYCLE_1)
	s_xor_b32 s0, exec_lo, s1
	s_cbranch_execz .LBB0_11
; %bb.10:
	v_add_nc_u32_e32 v130, 56, v120
	v_add_nc_u32_e32 v143, 0x70, v120
	v_add_nc_u32_e32 v142, 0xa8, v120
	v_add_nc_u32_e32 v141, 0xe0, v120
	v_add_nc_u32_e32 v140, 0x118, v120
	v_add_nc_u32_e32 v137, 0x150, v120
	v_add_nc_u32_e32 v136, 0x188, v120
	v_or_b32_e32 v139, 0x1c0, v120
	v_add_nc_u32_e32 v135, 0x1f8, v120
	v_add_nc_u32_e32 v134, 0x230, v120
	;; [unrolled: 1-line block ×4, first 2 shown]
	scratch_store_b64 off, v[0:1], off      ; 8-byte Folded Spill
.LBB0_11:
	s_or_saveexec_b32 s1, s0
	v_lshlrev_b64 v[0:1], 4, v[3:4]
	v_lshl_add_u32 v145, v120, 4, 0
	scratch_store_b64 off, v[0:1], off offset:36 ; 8-byte Folded Spill
	v_or_b32_e32 v0, 0x380, v120
	scratch_store_b64 off, v[0:1], off offset:24 ; 8-byte Folded Spill
	v_or_b32_e32 v0, 0x540, v120
	scratch_store_b64 off, v[0:1], off offset:16 ; 8-byte Folded Spill
	s_xor_b32 exec_lo, exec_lo, s1
	s_cbranch_execz .LBB0_13
; %bb.12:
	s_clause 0x3
	scratch_load_b64 v[2:3], off, off offset:36
	scratch_load_b64 v[20:21], off, off offset:24
	;; [unrolled: 1-line block ×4, first 2 shown]
	v_mov_b32_e32 v121, 0
	s_waitcnt vmcnt(3)
	v_add_co_u32 v24, s0, s8, v2
	s_waitcnt vmcnt(2)
	v_mov_b32_e32 v26, v20
	v_lshlrev_b64 v[0:1], 4, v[120:121]
	v_add_co_ci_u32_e64 v25, s0, s9, v3, s0
	s_waitcnt vmcnt(0)
	v_mov_b32_e32 v101, v121
	v_mov_b32_e32 v21, v121
	;; [unrolled: 1-line block ×3, first 2 shown]
	v_add_co_u32 v16, s0, v24, v0
	s_delay_alu instid0(VALU_DEP_1)
	v_add_co_ci_u32_e64 v17, s0, v25, v1, s0
	s_clause 0x3
	global_load_b128 v[0:3], v[16:17], off
	global_load_b128 v[4:7], v[16:17], off offset:896
	global_load_b128 v[8:11], v[16:17], off offset:1792
	;; [unrolled: 1-line block ×3, first 2 shown]
	scratch_store_b64 off, v[26:27], off offset:24 ; 8-byte Folded Spill
	v_mov_b32_e32 v26, v22
	v_lshlrev_b64 v[18:19], 4, v[100:101]
	v_add_co_u32 v36, s0, 0x1000, v16
	s_delay_alu instid0(VALU_DEP_1) | instskip(SKIP_1) | instid1(VALU_DEP_4)
	v_add_co_ci_u32_e64 v37, s0, 0, v17, s0
	v_lshlrev_b64 v[20:21], 4, v[20:21]
	v_add_co_u32 v32, s0, v24, v18
	s_delay_alu instid0(VALU_DEP_1) | instskip(SKIP_1) | instid1(VALU_DEP_1)
	v_add_co_ci_u32_e64 v33, s0, v25, v19, s0
	v_add_co_u32 v52, s0, 0x2000, v16
	v_add_co_ci_u32_e64 v53, s0, 0, v17, s0
	v_add_co_u32 v72, s0, 0x3000, v16
	s_delay_alu instid0(VALU_DEP_1) | instskip(SKIP_1) | instid1(VALU_DEP_1)
	v_add_co_ci_u32_e64 v73, s0, 0, v17, s0
	v_add_co_u32 v64, s0, v24, v20
	v_add_co_ci_u32_e64 v65, s0, v25, v21, s0
	v_lshlrev_b64 v[22:23], 4, v[22:23]
	v_add_co_u32 v88, s0, 0x4000, v16
	s_delay_alu instid0(VALU_DEP_1) | instskip(SKIP_1) | instid1(VALU_DEP_1)
	v_add_co_ci_u32_e64 v89, s0, 0, v17, s0
	v_add_co_u32 v92, s0, 0x5000, v16
	v_add_co_ci_u32_e64 v93, s0, 0, v17, s0
	v_add_co_u32 v96, s0, v24, v22
	scratch_store_b64 off, v[26:27], off offset:16 ; 8-byte Folded Spill
	v_add_co_ci_u32_e64 v97, s0, v25, v23, s0
	s_clause 0x14
	global_load_b128 v[16:19], v[16:17], off offset:3584
	global_load_b128 v[20:23], v[36:37], off offset:384
	;; [unrolled: 1-line block ×4, first 2 shown]
	global_load_b128 v[32:35], v[32:33], off
	global_load_b128 v[36:39], v[36:37], off offset:3968
	global_load_b128 v[40:43], v[52:53], off offset:768
	;; [unrolled: 1-line block ×7, first 2 shown]
	global_load_b128 v[64:67], v[64:65], off
	global_load_b128 v[68:71], v[72:73], off offset:2944
	global_load_b128 v[72:75], v[72:73], off offset:3840
	;; [unrolled: 1-line block ×7, first 2 shown]
	global_load_b128 v[96:99], v[96:97], off
	v_mov_b32_e32 v101, v100
	v_mov_b32_e32 v139, v100
	scratch_store_b64 off, v[101:102], off offset:8 ; 8-byte Folded Spill
	s_waitcnt vmcnt(24)
	ds_store_b128 v145, v[0:3]
	s_waitcnt vmcnt(23)
	ds_store_b128 v145, v[4:7] offset:896
	s_waitcnt vmcnt(22)
	ds_store_b128 v145, v[8:11] offset:1792
	;; [unrolled: 2-line block ×24, first 2 shown]
.LBB0_13:
	s_or_b32 exec_lo, exec_lo, s1
	s_waitcnt lgkmcnt(0)
	s_waitcnt_vscnt null, 0x0
	s_barrier
	buffer_gl0_inv
	ds_load_b128 v[0:3], v145 offset:11200
	ds_load_b128 v[4:7], v145
	ds_load_b128 v[8:11], v145 offset:896
	ds_load_b128 v[12:15], v145 offset:10752
	;; [unrolled: 1-line block ×14, first 2 shown]
	v_lshl_add_u32 v116, v136, 5, 0
	v_lshl_add_u32 v117, v139, 5, 0
	;; [unrolled: 1-line block ×5, first 2 shown]
	s_waitcnt lgkmcnt(14)
	v_add_f64 v[64:65], v[4:5], -v[0:1]
	v_add_f64 v[66:67], v[6:7], -v[2:3]
	ds_load_b128 v[0:3], v145 offset:17472
	ds_load_b128 v[68:71], v145 offset:18368
	ds_load_b128 v[72:75], v145 offset:7168
	ds_load_b128 v[76:79], v145 offset:8064
	ds_load_b128 v[80:83], v145 offset:19264
	ds_load_b128 v[84:87], v145 offset:20160
	ds_load_b128 v[88:91], v145 offset:8960
	ds_load_b128 v[92:95], v145 offset:9856
	ds_load_b128 v[96:99], v145 offset:21056
	ds_load_b128 v[100:103], v145 offset:21952
	s_waitcnt lgkmcnt(21)
	v_add_f64 v[16:17], v[8:9], -v[16:17]
	v_add_f64 v[18:19], v[10:11], -v[18:19]
	s_waitcnt lgkmcnt(19)
	v_add_f64 v[20:21], v[24:25], -v[20:21]
	v_add_f64 v[22:23], v[26:27], -v[22:23]
	s_waitcnt lgkmcnt(17)
	v_add_f64 v[32:33], v[28:29], -v[32:33]
	s_waitcnt lgkmcnt(15)
	v_add_f64 v[36:37], v[40:41], -v[36:37]
	v_add_f64 v[38:39], v[42:43], -v[38:39]
	s_waitcnt lgkmcnt(13)
	v_add_f64 v[48:49], v[44:45], -v[48:49]
	;; [unrolled: 3-line block ×3, first 2 shown]
	v_add_f64 v[106:107], v[58:59], -v[54:55]
	v_add_f64 v[34:35], v[30:31], -v[34:35]
	s_waitcnt lgkmcnt(9)
	v_add_f64 v[108:109], v[60:61], -v[0:1]
	s_waitcnt lgkmcnt(7)
	v_add_f64 v[68:69], v[72:73], -v[68:69]
	v_add_f64 v[70:71], v[74:75], -v[70:71]
	s_waitcnt lgkmcnt(5)
	v_add_f64 v[80:81], v[76:77], -v[80:81]
	;; [unrolled: 3-line block ×4, first 2 shown]
	v_add_f64 v[54:55], v[14:15], -v[102:103]
	v_add_f64 v[110:111], v[62:63], -v[2:3]
	;; [unrolled: 1-line block ×4, first 2 shown]
	s_barrier
	buffer_gl0_inv
	v_lshl_add_u32 v100, v141, 5, 0
	v_cmp_gt_u32_e64 s0, 28, v120
	v_fma_f64 v[4:5], v[4:5], 2.0, -v[64:65]
	v_fma_f64 v[6:7], v[6:7], 2.0, -v[66:67]
	v_fma_f64 v[8:9], v[8:9], 2.0, -v[16:17]
	v_fma_f64 v[10:11], v[10:11], 2.0, -v[18:19]
	v_fma_f64 v[24:25], v[24:25], 2.0, -v[20:21]
	v_fma_f64 v[26:27], v[26:27], 2.0, -v[22:23]
	v_fma_f64 v[28:29], v[28:29], 2.0, -v[32:33]
	v_fma_f64 v[40:41], v[40:41], 2.0, -v[36:37]
	v_fma_f64 v[42:43], v[42:43], 2.0, -v[38:39]
	v_fma_f64 v[44:45], v[44:45], 2.0, -v[48:49]
	v_fma_f64 v[46:47], v[46:47], 2.0, -v[50:51]
	v_fma_f64 v[56:57], v[56:57], 2.0, -v[104:105]
	v_fma_f64 v[58:59], v[58:59], 2.0, -v[106:107]
	v_fma_f64 v[30:31], v[30:31], 2.0, -v[34:35]
	v_fma_f64 v[60:61], v[60:61], 2.0, -v[108:109]
	v_fma_f64 v[72:73], v[72:73], 2.0, -v[68:69]
	v_fma_f64 v[74:75], v[74:75], 2.0, -v[70:71]
	v_fma_f64 v[76:77], v[76:77], 2.0, -v[80:81]
	v_fma_f64 v[78:79], v[78:79], 2.0, -v[82:83]
	v_fma_f64 v[88:89], v[88:89], 2.0, -v[84:85]
	v_fma_f64 v[90:91], v[90:91], 2.0, -v[86:87]
	v_fma_f64 v[0:1], v[12:13], 2.0, -v[52:53]
	v_fma_f64 v[2:3], v[14:15], 2.0, -v[54:55]
	v_fma_f64 v[62:63], v[62:63], 2.0, -v[110:111]
	v_fma_f64 v[92:93], v[92:93], 2.0, -v[96:97]
	v_fma_f64 v[94:95], v[94:95], 2.0, -v[98:99]
	v_lshl_add_u32 v12, v120, 5, 0
	v_lshl_add_u32 v13, v130, 5, 0
	v_lshl_add_u32 v14, v143, 5, 0
	v_lshl_add_u32 v15, v142, 5, 0
	ds_store_b128 v12, v[4:7]
	ds_store_b128 v12, v[64:67] offset:16
	ds_store_b128 v13, v[8:11]
	ds_store_b128 v13, v[16:19] offset:16
	;; [unrolled: 2-line block ×4, first 2 shown]
	v_lshl_add_u32 v4, v140, 5, 0
	v_lshl_add_u32 v5, v137, 5, 0
	ds_store_b128 v100, v[40:43]
	ds_store_b128 v100, v[36:39] offset:16
	ds_store_b128 v4, v[44:47]
	ds_store_b128 v4, v[48:51] offset:16
	;; [unrolled: 2-line block ×8, first 2 shown]
	s_and_saveexec_b32 s1, s0
	s_cbranch_execz .LBB0_15
; %bb.14:
	scratch_load_b64 v[4:5], off, off       ; 8-byte Folded Reload
	s_waitcnt vmcnt(0)
	v_lshl_add_u32 v4, v4, 5, 0
	ds_store_b128 v4, v[0:3]
	ds_store_b128 v4, v[52:55] offset:16
.LBB0_15:
	s_or_b32 exec_lo, exec_lo, s1
	v_lshlrev_b32_e32 v131, 4, v136
	v_lshlrev_b32_e32 v149, 4, v139
	;; [unrolled: 1-line block ×4, first 2 shown]
	v_lshl_add_u32 v148, v130, 4, 0
	v_lshl_add_u32 v20, v137, 4, 0
	v_lshlrev_b32_e32 v152, 4, v133
	v_lshl_add_u32 v147, v143, 4, 0
	v_sub_nc_u32_e32 v28, v116, v131
	v_lshl_add_u32 v127, v140, 4, 0
	v_sub_nc_u32_e32 v29, v117, v149
	v_sub_nc_u32_e32 v30, v118, v150
	v_lshl_add_u32 v138, v142, 4, 0
	v_sub_nc_u32_e32 v31, v119, v151
	s_waitcnt lgkmcnt(0)
	s_barrier
	buffer_gl0_inv
	ds_load_b128 v[60:63], v145 offset:11200
	ds_load_b128 v[56:59], v145 offset:12096
	v_lshl_add_u32 v146, v141, 4, 0
	ds_load_b128 v[12:15], v148
	ds_load_b128 v[4:7], v147
	ds_load_b128 v[68:71], v145 offset:12992
	ds_load_b128 v[64:67], v145 offset:13888
	ds_load_b128 v[16:19], v138
	ds_load_b128 v[8:11], v146
	ds_load_b128 v[76:79], v145 offset:14784
	ds_load_b128 v[72:75], v145 offset:15680
	ds_load_b128 v[24:27], v127
	scratch_store_b32 off, v20, off offset:44 ; 4-byte Folded Spill
	v_sub_nc_u32_e32 v32, v121, v152
	ds_load_b128 v[20:23], v20
	ds_load_b128 v[84:87], v145 offset:16576
	ds_load_b128 v[80:83], v145 offset:17472
	ds_load_b128 v[44:47], v28
	ds_load_b128 v[40:43], v29
	;; [unrolled: 1-line block ×6, first 2 shown]
	ds_load_b128 v[100:103], v145 offset:18368
	ds_load_b128 v[96:99], v145 offset:19264
	;; [unrolled: 1-line block ×4, first 2 shown]
	scratch_load_b64 v[122:123], off, off   ; 8-byte Folded Reload
	v_lshlrev_b32_e32 v115, 1, v120
	v_lshlrev_b32_e32 v114, 1, v130
	;; [unrolled: 1-line block ×12, first 2 shown]
	s_waitcnt vmcnt(0)
	v_lshl_add_u32 v122, v122, 4, 0
	scratch_store_b32 off, v122, off offset:32 ; 4-byte Folded Spill
	s_and_saveexec_b32 s1, s0
	s_cbranch_execz .LBB0_17
; %bb.16:
	scratch_load_b32 v0, off, off offset:32 ; 4-byte Folded Reload
	s_waitcnt vmcnt(0)
	ds_load_b128 v[0:3], v0
	ds_load_b128 v[52:55], v145 offset:21952
.LBB0_17:
	s_or_b32 exec_lo, exec_lo, s1
	v_and_b32_e32 v144, 1, v120
	s_delay_alu instid0(VALU_DEP_1)
	v_lshlrev_b32_e32 v123, 4, v144
	v_and_or_b32 v124, 0xfc, v114, v144
	v_and_or_b32 v125, 0x2fc, v110, v144
	;; [unrolled: 1-line block ×4, first 2 shown]
	global_load_b128 v[153:156], v123, s[4:5]
	v_and_or_b32 v123, 0x7c, v115, v144
	v_and_or_b32 v129, 0x3fc, v107, v144
	;; [unrolled: 1-line block ×3, first 2 shown]
	s_waitcnt vmcnt(0) lgkmcnt(23)
	v_mul_f64 v[157:158], v[62:63], v[155:156]
	s_waitcnt lgkmcnt(22)
	v_mul_f64 v[161:162], v[58:59], v[155:156]
	v_mul_f64 v[159:160], v[60:61], v[155:156]
	v_mul_f64 v[163:164], v[56:57], v[155:156]
	s_waitcnt lgkmcnt(19)
	v_mul_f64 v[165:166], v[70:71], v[155:156]
	v_mul_f64 v[167:168], v[68:69], v[155:156]
	s_waitcnt lgkmcnt(18)
	v_mul_f64 v[169:170], v[66:67], v[155:156]
	v_mul_f64 v[171:172], v[64:65], v[155:156]
	;; [unrolled: 3-line block ×10, first 2 shown]
	v_mul_f64 v[205:206], v[54:55], v[155:156]
	v_mul_f64 v[155:156], v[52:53], v[155:156]
	v_fma_f64 v[60:61], v[60:61], v[153:154], v[157:158]
	v_fma_f64 v[157:158], v[56:57], v[153:154], v[161:162]
	scratch_load_b64 v[56:57], off, off     ; 8-byte Folded Reload
	v_fma_f64 v[62:63], v[62:63], v[153:154], -v[159:160]
	v_fma_f64 v[68:69], v[68:69], v[153:154], v[165:166]
	v_fma_f64 v[70:71], v[70:71], v[153:154], -v[167:168]
	v_fma_f64 v[159:160], v[58:59], v[153:154], -v[163:164]
	v_fma_f64 v[161:162], v[64:65], v[153:154], v[169:170]
	v_fma_f64 v[163:164], v[66:67], v[153:154], -v[171:172]
	v_fma_f64 v[76:77], v[76:77], v[153:154], v[173:174]
	v_fma_f64 v[78:79], v[78:79], v[153:154], -v[175:176]
	v_fma_f64 v[165:166], v[72:73], v[153:154], v[177:178]
	v_fma_f64 v[167:168], v[74:75], v[153:154], -v[179:180]
	v_fma_f64 v[84:85], v[84:85], v[153:154], v[181:182]
	v_fma_f64 v[86:87], v[86:87], v[153:154], -v[183:184]
	v_fma_f64 v[169:170], v[80:81], v[153:154], v[185:186]
	v_fma_f64 v[171:172], v[82:83], v[153:154], -v[187:188]
	v_fma_f64 v[100:101], v[100:101], v[153:154], v[189:190]
	v_fma_f64 v[102:103], v[102:103], v[153:154], -v[191:192]
	v_fma_f64 v[173:174], v[96:97], v[153:154], v[193:194]
	v_fma_f64 v[175:176], v[98:99], v[153:154], -v[195:196]
	v_fma_f64 v[177:178], v[92:93], v[153:154], v[197:198]
	v_fma_f64 v[179:180], v[94:95], v[153:154], -v[199:200]
	v_fma_f64 v[181:182], v[88:89], v[153:154], v[201:202]
	v_fma_f64 v[52:53], v[52:53], v[153:154], v[205:206]
	v_fma_f64 v[54:55], v[54:55], v[153:154], -v[155:156]
	v_fma_f64 v[183:184], v[90:91], v[153:154], -v[203:204]
	v_sub_nc_u32_e32 v81, 0, v131
	v_sub_nc_u32_e32 v80, 0, v149
	;; [unrolled: 1-line block ×5, first 2 shown]
	s_waitcnt vmcnt(0)
	s_waitcnt_vscnt null, 0x0
	s_barrier
	buffer_gl0_inv
	v_add_f64 v[58:59], v[50:51], -v[62:63]
	v_add_f64 v[64:65], v[4:5], -v[68:69]
	;; [unrolled: 1-line block ×24, first 2 shown]
	v_and_or_b32 v86, 0x1fc, v113, v144
	v_and_or_b32 v87, 0x1fc, v112, v144
	;; [unrolled: 1-line block ×5, first 2 shown]
	v_fma_f64 v[50:51], v[50:51], 2.0, -v[58:59]
	v_fma_f64 v[159:160], v[6:7], 2.0, -v[66:67]
	;; [unrolled: 1-line block ×22, first 2 shown]
	v_lshl_add_u32 v2, v86, 4, 0
	v_lshl_add_u32 v3, v87, 4, 0
	;; [unrolled: 1-line block ×7, first 2 shown]
	v_lshlrev_b32_e32 v131, 1, v56
	v_add_f64 v[56:57], v[48:49], -v[60:61]
	v_add_f64 v[60:61], v[12:13], -v[157:158]
	v_fma_f64 v[157:158], v[4:5], 2.0, -v[64:65]
	v_fma_f64 v[4:5], v[0:1], 2.0, -v[52:53]
	v_lshl_add_u32 v0, v123, 4, 0
	v_lshl_add_u32 v1, v124, 4, 0
	v_lshl_add_u32 v123, v128, 4, 0
	v_lshl_add_u32 v124, v129, 4, 0
	v_lshl_add_u32 v128, v162, 4, 0
	v_fma_f64 v[48:49], v[48:49], 2.0, -v[56:57]
	v_fma_f64 v[12:13], v[12:13], 2.0, -v[60:61]
	ds_store_b128 v0, v[48:51]
	ds_store_b128 v0, v[56:59] offset:32
	ds_store_b128 v1, v[12:15]
	ds_store_b128 v1, v[60:63] offset:32
	;; [unrolled: 2-line block ×12, first 2 shown]
	s_and_saveexec_b32 s1, s0
	s_cbranch_execz .LBB0_19
; %bb.18:
	v_and_or_b32 v0, 0x57c, v131, v144
	s_delay_alu instid0(VALU_DEP_1)
	v_lshl_add_u32 v0, v0, 4, 0
	ds_store_b128 v0, v[4:7]
	ds_store_b128 v0, v[52:55] offset:32
.LBB0_19:
	s_or_b32 exec_lo, exec_lo, s1
	v_add_nc_u32_e32 v25, v116, v81
	v_add_nc_u32_e32 v24, v117, v80
	v_lshl_add_u32 v20, v137, 4, 0
	s_waitcnt lgkmcnt(0)
	s_barrier
	buffer_gl0_inv
	ds_load_b128 v[56:59], v145 offset:11200
	ds_load_b128 v[60:63], v145 offset:12096
	ds_load_b128 v[8:11], v148
	ds_load_b128 v[0:3], v147
	ds_load_b128 v[64:67], v145 offset:12992
	ds_load_b128 v[68:71], v145 offset:13888
	ds_load_b128 v[16:19], v138
	ds_load_b128 v[12:15], v146
	ds_load_b128 v[72:75], v145 offset:14784
	ds_load_b128 v[76:79], v145 offset:15680
	v_add_nc_u32_e32 v36, v118, v90
	v_add_nc_u32_e32 v40, v121, v88
	;; [unrolled: 1-line block ×3, first 2 shown]
	ds_load_b128 v[28:31], v127
	ds_load_b128 v[20:23], v20
	ds_load_b128 v[84:87], v145 offset:16576
	ds_load_b128 v[80:83], v145 offset:17472
	s_clause 0x1
	scratch_store_b32 off, v25, off offset:64
	scratch_store_b32 off, v24, off offset:60
	ds_load_b128 v[32:35], v25
	ds_load_b128 v[24:27], v24
	ds_load_b128 v[92:95], v145 offset:18368
	ds_load_b128 v[88:91], v145 offset:19264
	scratch_store_b32 off, v36, off offset:56 ; 4-byte Folded Spill
	ds_load_b128 v[44:47], v36
	ds_load_b128 v[36:39], v122
	;; [unrolled: 1-line block ×3, first 2 shown]
	scratch_store_b32 off, v40, off offset:48 ; 4-byte Folded Spill
	ds_load_b128 v[40:43], v40
	ds_load_b128 v[100:103], v145 offset:20160
	ds_load_b128 v[96:99], v145 offset:21056
	s_and_saveexec_b32 s1, s0
	s_cbranch_execz .LBB0_21
; %bb.20:
	scratch_load_b32 v4, off, off offset:32 ; 4-byte Folded Reload
	s_waitcnt vmcnt(0)
	ds_load_b128 v[4:7], v4
	ds_load_b128 v[52:55], v145 offset:21952
.LBB0_21:
	s_or_b32 exec_lo, exec_lo, s1
	v_and_b32_e32 v116, 3, v120
	s_delay_alu instid0(VALU_DEP_1)
	v_lshlrev_b32_e32 v117, 4, v116
	v_and_or_b32 v119, 0x78, v115, v116
	v_and_or_b32 v121, 0xf8, v114, v116
	;; [unrolled: 1-line block ×4, first 2 shown]
	global_load_b128 v[154:157], v117, s[4:5] offset:32
	v_and_or_b32 v111, 0x3f8, v111, v116
	v_and_or_b32 v110, 0x2f8, v110, v116
	;; [unrolled: 1-line block ×8, first 2 shown]
	v_lshl_add_u32 v113, v113, 4, 0
	s_waitcnt vmcnt(0) lgkmcnt(0)
	s_waitcnt_vscnt null, 0x0
	s_barrier
	buffer_gl0_inv
	v_lshl_add_u32 v112, v112, 4, 0
	v_lshl_add_u32 v111, v111, 4, 0
	;; [unrolled: 1-line block ×9, first 2 shown]
	v_mul_f64 v[117:118], v[58:59], v[156:157]
	v_mul_f64 v[158:159], v[56:57], v[156:157]
	;; [unrolled: 1-line block ×24, first 2 shown]
	v_fma_f64 v[56:57], v[56:57], v[154:155], v[117:118]
	v_fma_f64 v[58:59], v[58:59], v[154:155], -v[158:159]
	v_fma_f64 v[64:65], v[64:65], v[154:155], v[164:165]
	v_fma_f64 v[66:67], v[66:67], v[154:155], -v[166:167]
	v_fma_f64 v[68:69], v[68:69], v[154:155], v[168:169]
	v_fma_f64 v[84:85], v[84:85], v[154:155], v[180:181]
	;; [unrolled: 1-line block ×3, first 2 shown]
	v_mul_f64 v[168:169], v[54:55], v[156:157]
	v_mul_f64 v[156:157], v[52:53], v[156:157]
	v_fma_f64 v[60:61], v[60:61], v[154:155], v[160:161]
	v_fma_f64 v[62:63], v[62:63], v[154:155], -v[162:163]
	v_fma_f64 v[70:71], v[70:71], v[154:155], -v[170:171]
	v_fma_f64 v[72:73], v[72:73], v[154:155], v[172:173]
	v_fma_f64 v[74:75], v[74:75], v[154:155], -v[174:175]
	v_fma_f64 v[76:77], v[76:77], v[154:155], v[176:177]
	v_fma_f64 v[78:79], v[78:79], v[154:155], -v[178:179]
	v_fma_f64 v[86:87], v[86:87], v[154:155], -v[182:183]
	;; [unrolled: 1-line block ×3, first 2 shown]
	v_fma_f64 v[92:93], v[92:93], v[154:155], v[188:189]
	v_fma_f64 v[94:95], v[94:95], v[154:155], -v[190:191]
	v_fma_f64 v[160:161], v[88:89], v[154:155], v[192:193]
	v_fma_f64 v[162:163], v[90:91], v[154:155], -v[194:195]
	;; [unrolled: 2-line block ×4, first 2 shown]
	v_add_f64 v[56:57], v[48:49], -v[56:57]
	v_add_f64 v[58:59], v[50:51], -v[58:59]
	;; [unrolled: 1-line block ×7, first 2 shown]
	v_fma_f64 v[114:115], v[52:53], v[154:155], v[168:169]
	v_fma_f64 v[117:118], v[54:55], v[154:155], -v[156:157]
	v_add_f64 v[60:61], v[8:9], -v[60:61]
	v_add_f64 v[62:63], v[10:11], -v[62:63]
	;; [unrolled: 1-line block ×17, first 2 shown]
	v_fma_f64 v[48:49], v[48:49], 2.0, -v[56:57]
	v_fma_f64 v[50:51], v[50:51], 2.0, -v[58:59]
	v_fma_f64 v[52:53], v[0:1], 2.0, -v[64:65]
	v_fma_f64 v[54:55], v[2:3], 2.0, -v[66:67]
	v_fma_f64 v[16:17], v[16:17], 2.0, -v[68:69]
	v_fma_f64 v[20:21], v[20:21], 2.0, -v[80:81]
	v_fma_f64 v[32:33], v[32:33], 2.0, -v[84:85]
	v_add_f64 v[0:1], v[4:5], -v[114:115]
	v_add_f64 v[2:3], v[6:7], -v[117:118]
	v_fma_f64 v[8:9], v[8:9], 2.0, -v[60:61]
	v_fma_f64 v[10:11], v[10:11], 2.0, -v[62:63]
	;; [unrolled: 1-line block ×17, first 2 shown]
	v_lshl_add_u32 v114, v119, 4, 0
	v_lshl_add_u32 v115, v121, 4, 0
	ds_store_b128 v114, v[48:51]
	ds_store_b128 v114, v[56:59] offset:64
	ds_store_b128 v115, v[8:11]
	ds_store_b128 v115, v[60:63] offset:64
	;; [unrolled: 2-line block ×12, first 2 shown]
	s_and_saveexec_b32 s1, s0
	s_cbranch_execz .LBB0_23
; %bb.22:
	v_fma_f64 v[6:7], v[6:7], 2.0, -v[2:3]
	v_fma_f64 v[4:5], v[4:5], 2.0, -v[0:1]
	v_and_or_b32 v8, 0x578, v131, v116
	s_delay_alu instid0(VALU_DEP_1)
	v_lshl_add_u32 v8, v8, 4, 0
	ds_store_b128 v8, v[4:7]
	ds_store_b128 v8, v[0:3] offset:64
.LBB0_23:
	s_or_b32 exec_lo, exec_lo, s1
	v_and_b32_e32 v121, 7, v120
	s_waitcnt lgkmcnt(0)
	s_barrier
	buffer_gl0_inv
	v_lshrrev_b32_e32 v123, 3, v120
	v_lshlrev_b32_e32 v4, 6, v121
	v_lshrrev_b32_e32 v124, 3, v130
	v_lshrrev_b32_e32 v125, 3, v143
	;; [unrolled: 1-line block ×4, first 2 shown]
	s_clause 0x3
	global_load_b128 v[36:39], v4, s[4:5] offset:96
	global_load_b128 v[32:35], v4, s[4:5] offset:112
	;; [unrolled: 1-line block ×4, first 2 shown]
	ds_load_b128 v[108:111], v127
	scratch_store_b32 off, v122, off offset:52 ; 4-byte Folded Spill
	ds_load_b128 v[100:103], v122
	ds_load_b128 v[20:23], v145
	ds_load_b128 v[92:95], v145 offset:5376
	ds_load_b128 v[104:107], v145 offset:17920
	;; [unrolled: 1-line block ×3, first 2 shown]
	ds_load_b128 v[16:19], v148
	ds_load_b128 v[8:11], v147
	ds_load_b128 v[96:99], v145 offset:14336
	ds_load_b128 v[68:71], v145 offset:15232
	ds_load_b128 v[80:83], v145 offset:6272
	ds_load_b128 v[48:51], v145 offset:7168
	ds_load_b128 v[84:87], v145 offset:10752
	ds_load_b128 v[52:55], v145 offset:11648
	ds_load_b128 v[76:79], v145 offset:19712
	ds_load_b128 v[40:43], v145 offset:20608
	ds_load_b128 v[12:15], v138
	ds_load_b128 v[4:7], v146
	ds_load_b128 v[112:115], v145 offset:9856
	ds_load_b128 v[56:59], v145 offset:8064
	;; [unrolled: 1-line block ×7, first 2 shown]
	v_mul_u32_u24_e32 v144, 40, v123
	v_mul_lo_u32 v153, v124, 40
	v_mul_lo_u32 v127, v125, 40
	;; [unrolled: 1-line block ×4, first 2 shown]
	s_mov_b32 s10, 0x134454ff
	s_mov_b32 s11, 0xbfee6f0e
	;; [unrolled: 1-line block ×10, first 2 shown]
	s_waitcnt vmcnt(0) lgkmcnt(0)
	s_waitcnt_vscnt null, 0x0
	s_barrier
	buffer_gl0_inv
	v_cmp_gt_u32_e64 s1, 32, v120
	v_mul_f64 v[154:155], v[110:111], v[38:39]
	v_mul_f64 v[156:157], v[108:109], v[38:39]
	;; [unrolled: 1-line block ×40, first 2 shown]
	v_fma_f64 v[108:109], v[108:109], v[36:37], v[154:155]
	v_fma_f64 v[110:111], v[110:111], v[36:37], -v[156:157]
	v_fma_f64 v[100:101], v[100:101], v[32:33], v[158:159]
	v_fma_f64 v[116:117], v[116:117], v[28:29], v[162:163]
	v_fma_f64 v[102:103], v[102:103], v[32:33], -v[160:161]
	v_fma_f64 v[104:105], v[104:105], v[24:25], v[166:167]
	v_fma_f64 v[118:119], v[118:119], v[28:29], -v[164:165]
	v_fma_f64 v[106:107], v[106:107], v[24:25], -v[168:169]
	v_fma_f64 v[80:81], v[80:81], v[36:37], v[186:187]
	v_fma_f64 v[84:85], v[84:85], v[32:33], v[190:191]
	v_fma_f64 v[86:87], v[86:87], v[32:33], -v[192:193]
	v_fma_f64 v[68:69], v[68:69], v[28:29], v[194:195]
	v_fma_f64 v[70:71], v[70:71], v[28:29], -v[196:197]
	v_fma_f64 v[76:77], v[76:77], v[24:25], v[198:199]
	v_fma_f64 v[92:93], v[92:93], v[36:37], v[170:171]
	v_fma_f64 v[94:95], v[94:95], v[36:37], -v[172:173]
	v_fma_f64 v[112:113], v[112:113], v[32:33], v[174:175]
	v_fma_f64 v[114:115], v[114:115], v[32:33], -v[176:177]
	;; [unrolled: 2-line block ×8, first 2 shown]
	v_fma_f64 v[82:83], v[82:83], v[36:37], -v[188:189]
	v_fma_f64 v[78:79], v[78:79], v[24:25], -v[200:201]
	v_fma_f64 v[56:57], v[56:57], v[36:37], v[218:219]
	v_fma_f64 v[36:37], v[58:59], v[36:37], -v[38:39]
	v_fma_f64 v[38:39], v[60:61], v[32:33], v[220:221]
	;; [unrolled: 2-line block ×4, first 2 shown]
	v_fma_f64 v[46:47], v[46:47], v[24:25], -v[26:27]
	v_add_f64 v[24:25], v[20:21], v[108:109]
	v_add_f64 v[26:27], v[100:101], v[116:117]
	;; [unrolled: 1-line block ×6, first 2 shown]
	v_add_f64 v[30:31], v[108:109], -v[100:101]
	v_add_f64 v[58:59], v[104:105], -v[116:117]
	;; [unrolled: 1-line block ×3, first 2 shown]
	v_add_f64 v[180:181], v[84:85], v[68:69]
	v_add_f64 v[184:185], v[86:87], v[70:71]
	;; [unrolled: 1-line block ×5, first 2 shown]
	v_add_f64 v[64:65], v[116:117], -v[104:105]
	v_add_f64 v[156:157], v[110:111], -v[102:103]
	v_add_f64 v[168:169], v[112:113], v[96:97]
	v_add_f64 v[172:173], v[114:115], v[98:99]
	;; [unrolled: 1-line block ×4, first 2 shown]
	v_add_f64 v[158:159], v[106:107], -v[118:119]
	v_add_f64 v[210:211], v[8:9], v[80:81]
	v_add_f64 v[162:163], v[102:103], -v[110:111]
	v_add_f64 v[164:165], v[118:119], -v[106:107]
	v_add_f64 v[192:193], v[52:53], v[88:89]
	v_add_f64 v[196:197], v[54:55], v[90:91]
	;; [unrolled: 1-line block ×9, first 2 shown]
	v_add_f64 v[123:124], v[38:39], -v[56:57]
	v_add_f64 v[151:152], v[38:39], v[34:35]
	v_add_f64 v[176:177], v[92:93], -v[112:113]
	v_add_f64 v[125:126], v[34:35], -v[44:45]
	;; [unrolled: 1-line block ×3, first 2 shown]
	v_add_f64 v[149:150], v[56:57], v[44:45]
	v_fma_f64 v[26:27], v[26:27], -0.5, v[20:21]
	v_add_f64 v[110:111], v[110:111], -v[106:107]
	v_fma_f64 v[20:21], v[60:61], -0.5, v[20:21]
	v_fma_f64 v[60:61], v[154:155], -0.5, v[22:23]
	;; [unrolled: 1-line block ×3, first 2 shown]
	v_add_f64 v[160:161], v[32:33], v[28:29]
	v_add_f64 v[108:109], v[108:109], -v[104:105]
	v_add_f64 v[24:25], v[24:25], v[100:101]
	v_fma_f64 v[180:181], v[180:181], -0.5, v[8:9]
	v_add_f64 v[66:67], v[66:67], v[102:103]
	v_fma_f64 v[8:9], v[182:183], -0.5, v[8:9]
	v_fma_f64 v[182:183], v[184:185], -0.5, v[10:11]
	v_add_f64 v[184:185], v[36:37], v[46:47]
	v_add_f64 v[254:255], v[100:101], -v[116:117]
	v_add_f64 v[154:155], v[6:7], v[36:37]
	v_fma_f64 v[168:169], v[168:169], -0.5, v[16:17]
	v_add_f64 v[188:189], v[112:113], -v[92:93]
	v_fma_f64 v[16:17], v[170:171], -0.5, v[16:17]
	v_fma_f64 v[170:171], v[172:173], -0.5, v[18:19]
	;; [unrolled: 1-line block ×3, first 2 shown]
	v_add_f64 v[172:173], v[36:37], -v[32:33]
	v_add_f64 v[174:175], v[46:47], -v[28:29]
	v_add_f64 v[202:203], v[94:95], -v[114:115]
	v_fma_f64 v[192:193], v[192:193], -0.5, v[12:13]
	v_add_f64 v[206:207], v[114:115], -v[94:95]
	v_fma_f64 v[12:13], v[194:195], -0.5, v[12:13]
	v_fma_f64 v[194:195], v[196:197], -0.5, v[14:15]
	;; [unrolled: 1-line block ×3, first 2 shown]
	v_add_f64 v[198:199], v[102:103], -v[118:119]
	v_fma_f64 v[10:11], v[186:187], -0.5, v[10:11]
	v_add_f64 v[186:187], v[32:33], -v[36:37]
	v_add_f64 v[94:95], v[94:95], -v[74:75]
	v_add_f64 v[58:59], v[30:31], v[58:59]
	v_add_f64 v[30:31], v[114:115], -v[98:99]
	v_add_f64 v[92:93], v[92:93], -v[72:73]
	;; [unrolled: 1-line block ×3, first 2 shown]
	v_add_f64 v[36:37], v[166:167], v[112:113]
	v_add_f64 v[114:115], v[200:201], v[114:115]
	v_add_f64 v[196:197], v[28:29], -v[46:47]
	v_add_f64 v[62:63], v[62:63], v[64:65]
	v_add_f64 v[64:65], v[112:113], -v[96:97]
	v_add_f64 v[212:213], v[80:81], -v[84:85]
	;; [unrolled: 1-line block ×6, first 2 shown]
	v_add_f64 v[156:157], v[156:157], v[158:159]
	v_add_f64 v[158:159], v[86:87], -v[70:71]
	v_add_f64 v[80:81], v[80:81], -v[76:77]
	;; [unrolled: 1-line block ×3, first 2 shown]
	v_add_f64 v[84:85], v[210:211], v[84:85]
	v_add_f64 v[86:87], v[220:221], v[86:87]
	v_add_f64 v[190:191], v[96:97], -v[72:73]
	v_add_f64 v[204:205], v[74:75], -v[98:99]
	;; [unrolled: 1-line block ×10, first 2 shown]
	v_add_f64 v[162:163], v[162:163], v[164:165]
	v_add_f64 v[164:165], v[52:53], -v[88:89]
	v_add_f64 v[54:55], v[240:241], v[54:55]
	v_add_f64 v[52:53], v[230:231], v[52:53]
	v_add_f64 v[224:225], v[78:79], -v[70:71]
	v_add_f64 v[208:209], v[98:99], -v[74:75]
	;; [unrolled: 1-line block ×6, first 2 shown]
	v_add_f64 v[38:39], v[128:129], v[38:39]
	v_fma_f64 v[128:129], v[151:152], -0.5, v[4:5]
	v_add_f64 v[123:124], v[123:124], v[125:126]
	v_fma_f64 v[125:126], v[160:161], -0.5, v[6:7]
	v_add_f64 v[234:235], v[40:41], -v[88:89]
	v_add_f64 v[176:177], v[176:177], v[178:179]
	v_add_f64 v[178:179], v[32:33], -v[28:29]
	v_fma_f64 v[4:5], v[149:150], -0.5, v[4:5]
	v_fma_f64 v[6:7], v[184:185], -0.5, v[6:7]
	v_add_f64 v[24:25], v[24:25], v[116:117]
	v_add_f64 v[66:67], v[66:67], v[118:119]
	v_fma_f64 v[116:117], v[110:111], s[10:11], v[26:27]
	v_fma_f64 v[160:161], v[108:109], s[14:15], v[60:61]
	v_add_f64 v[149:150], v[172:173], v[174:175]
	v_fma_f64 v[118:119], v[198:199], s[14:15], v[20:21]
	v_fma_f64 v[172:173], v[254:255], s[10:11], v[22:23]
	;; [unrolled: 3-line block ×3, first 2 shown]
	v_fma_f64 v[26:27], v[110:111], s[14:15], v[26:27]
	v_fma_f64 v[60:61], v[108:109], s[10:11], v[60:61]
	v_add_f64 v[36:37], v[36:37], v[96:97]
	v_fma_f64 v[96:97], v[94:95], s[10:11], v[168:169]
	v_add_f64 v[98:99], v[114:115], v[98:99]
	;; [unrolled: 2-line block ×3, first 2 shown]
	v_fma_f64 v[184:185], v[30:31], s[14:15], v[16:17]
	v_fma_f64 v[186:187], v[64:65], s[10:11], v[18:19]
	;; [unrolled: 1-line block ×6, first 2 shown]
	v_add_f64 v[214:215], v[76:77], -v[68:69]
	v_add_f64 v[68:69], v[84:85], v[68:69]
	v_fma_f64 v[84:85], v[82:83], s[10:11], v[180:181]
	v_add_f64 v[70:71], v[86:87], v[70:71]
	v_fma_f64 v[196:197], v[80:81], s[14:15], v[182:183]
	v_add_f64 v[166:167], v[188:189], v[190:191]
	v_add_f64 v[188:189], v[202:203], v[204:205]
	;; [unrolled: 1-line block ×3, first 2 shown]
	v_fma_f64 v[86:87], v[158:159], s[14:15], v[8:9]
	v_fma_f64 v[8:9], v[158:159], s[10:11], v[8:9]
	;; [unrolled: 1-line block ×6, first 2 shown]
	v_add_f64 v[238:239], v[88:89], -v[40:41]
	v_add_f64 v[244:245], v[42:43], -v[90:91]
	;; [unrolled: 1-line block ×3, first 2 shown]
	v_add_f64 v[52:53], v[52:53], v[88:89]
	v_fma_f64 v[88:89], v[50:51], s[10:11], v[192:193]
	v_fma_f64 v[192:193], v[50:51], s[14:15], v[192:193]
	v_add_f64 v[54:55], v[54:55], v[90:91]
	v_fma_f64 v[90:91], v[102:103], s[14:15], v[12:13]
	v_fma_f64 v[220:221], v[48:49], s[14:15], v[194:195]
	;; [unrolled: 3-line block ×3, first 2 shown]
	v_fma_f64 v[14:15], v[164:165], s[14:15], v[14:15]
	v_fma_f64 v[194:195], v[48:49], s[10:11], v[194:195]
	v_add_f64 v[252:253], v[44:45], -v[34:35]
	v_add_f64 v[190:191], v[206:207], v[208:209]
	v_add_f64 v[206:207], v[226:227], v[228:229]
	v_fma_f64 v[226:227], v[131:132], s[10:11], v[128:129]
	v_fma_f64 v[230:231], v[56:57], s[14:15], v[125:126]
	v_add_f64 v[208:209], v[232:233], v[234:235]
	v_fma_f64 v[228:229], v[178:179], s[14:15], v[4:5]
	v_fma_f64 v[125:126], v[56:57], s[10:11], v[125:126]
	;; [unrolled: 1-line block ×6, first 2 shown]
	v_add_f64 v[22:23], v[66:67], v[106:107]
	v_fma_f64 v[66:67], v[198:199], s[6:7], v[116:117]
	v_fma_f64 v[116:117], v[254:255], s[12:13], v[160:161]
	v_fma_f64 v[106:107], v[110:111], s[6:7], v[118:119]
	v_fma_f64 v[118:119], v[108:109], s[12:13], v[172:173]
	v_fma_f64 v[110:111], v[110:111], s[12:13], v[154:155]
	v_fma_f64 v[108:109], v[108:109], s[6:7], v[174:175]
	v_add_f64 v[38:39], v[38:39], v[34:35]
	v_add_f64 v[222:223], v[32:33], v[28:29]
	;; [unrolled: 1-line block ×3, first 2 shown]
	v_fma_f64 v[104:105], v[198:199], s[12:13], v[26:27]
	v_fma_f64 v[60:61], v[254:255], s[6:7], v[60:61]
	v_add_f64 v[24:25], v[36:37], v[72:73]
	v_fma_f64 v[72:73], v[30:31], s[6:7], v[96:97]
	v_add_f64 v[26:27], v[98:99], v[74:75]
	v_fma_f64 v[74:75], v[64:65], s[12:13], v[114:115]
	v_fma_f64 v[154:155], v[94:95], s[6:7], v[184:185]
	;; [unrolled: 1-line block ×7, first 2 shown]
	v_add_f64 v[200:201], v[212:213], v[214:215]
	v_add_f64 v[28:29], v[68:69], v[76:77]
	v_fma_f64 v[76:77], v[158:159], s[6:7], v[84:85]
	v_add_f64 v[30:31], v[70:71], v[78:79]
	v_fma_f64 v[78:79], v[100:101], s[12:13], v[196:197]
	v_fma_f64 v[86:87], v[82:83], s[6:7], v[86:87]
	;; [unrolled: 1-line block ×7, first 2 shown]
	v_add_f64 v[210:211], v[236:237], v[238:239]
	v_add_f64 v[212:213], v[242:243], v[244:245]
	v_fma_f64 v[88:89], v[102:103], s[6:7], v[88:89]
	v_fma_f64 v[100:101], v[102:103], s[12:13], v[192:193]
	v_fma_f64 v[90:91], v[50:51], s[6:7], v[90:91]
	v_fma_f64 v[102:103], v[164:165], s[12:13], v[220:221]
	v_add_f64 v[214:215], v[246:247], v[248:249]
	v_fma_f64 v[158:159], v[48:49], s[12:13], v[224:225]
	v_fma_f64 v[12:13], v[50:51], s[12:13], v[12:13]
	v_fma_f64 v[14:15], v[48:49], s[6:7], v[14:15]
	v_fma_f64 v[114:115], v[164:165], s[6:7], v[194:195]
	;; [unrolled: 5-line block ×3, first 2 shown]
	v_fma_f64 v[125:126], v[56:57], s[12:13], v[232:233]
	v_fma_f64 v[131:132], v[131:132], s[12:13], v[4:5]
	v_fma_f64 v[170:171], v[56:57], s[6:7], v[6:7]
	v_fma_f64 v[128:129], v[178:179], s[12:13], v[128:129]
	v_add_f64 v[32:33], v[52:53], v[40:41]
	v_add_f64 v[34:35], v[54:55], v[42:43]
	v_fma_f64 v[40:41], v[58:59], s[2:3], v[66:67]
	v_fma_f64 v[42:43], v[156:157], s[2:3], v[116:117]
	;; [unrolled: 1-line block ×6, first 2 shown]
	v_add_f64 v[36:37], v[38:39], v[44:45]
	v_add_f64 v[38:39], v[222:223], v[46:47]
	v_fma_f64 v[44:45], v[58:59], s[2:3], v[104:105]
	v_fma_f64 v[46:47], v[156:157], s[2:3], v[60:61]
	;; [unrolled: 1-line block ×34, first 2 shown]
	v_or_b32_e32 v104, v144, v121
	v_or_b32_e32 v105, v153, v121
	;; [unrolled: 1-line block ×5, first 2 shown]
	v_lshl_add_u32 v104, v104, 4, 0
	v_lshl_add_u32 v105, v105, 4, 0
	;; [unrolled: 1-line block ×5, first 2 shown]
	ds_store_b128 v104, v[20:23]
	ds_store_b128 v104, v[40:43] offset:128
	ds_store_b128 v104, v[48:51] offset:256
	ds_store_b128 v104, v[52:55] offset:384
	ds_store_b128 v104, v[44:47] offset:512
	ds_store_b128 v105, v[24:27]
	ds_store_b128 v105, v[56:59] offset:128
	ds_store_b128 v105, v[64:67] offset:256
	ds_store_b128 v105, v[68:71] offset:384
	ds_store_b128 v105, v[60:63] offset:512
	;; [unrolled: 5-line block ×5, first 2 shown]
	s_waitcnt lgkmcnt(0)
	s_barrier
	buffer_gl0_inv
	ds_load_b128 v[32:35], v145
	ds_load_b128 v[92:95], v145 offset:3200
	ds_load_b128 v[84:87], v145 offset:6400
	ds_load_b128 v[60:63], v145 offset:7296
	ds_load_b128 v[56:59], v145 offset:12800
	ds_load_b128 v[48:51], v145 offset:13696
	ds_load_b128 v[104:107], v145 offset:19200
	ds_load_b128 v[76:79], v145 offset:20096
	ds_load_b128 v[36:39], v148
	ds_load_b128 v[28:31], v147
	ds_load_b128 v[96:99], v145 offset:4096
	ds_load_b128 v[64:67], v145 offset:4992
	ds_load_b128 v[88:91], v145 offset:9600
	ds_load_b128 v[68:71], v145 offset:8192
	ds_load_b128 v[52:55], v145 offset:10496
	ds_load_b128 v[40:43], v145 offset:11392
	ds_load_b128 v[108:111], v145 offset:16000
	ds_load_b128 v[44:47], v145 offset:14592
	ds_load_b128 v[100:103], v145 offset:16896
	ds_load_b128 v[72:75], v145 offset:17792
	ds_load_b128 v[80:83], v145 offset:20992
                                        ; implicit-def: $vgpr26_vgpr27
                                        ; implicit-def: $vgpr22_vgpr23
	s_and_saveexec_b32 s2, s1
	s_cbranch_execz .LBB0_25
; %bb.24:
	ds_load_b128 v[4:7], v138
	ds_load_b128 v[8:11], v145 offset:5888
	ds_load_b128 v[12:15], v145 offset:9088
	;; [unrolled: 1-line block ×6, first 2 shown]
.LBB0_25:
	s_or_b32 exec_lo, exec_lo, s2
	v_and_b32_e32 v112, 0xff, v130
	v_subrev_nc_u32_e32 v113, 40, v120
	v_cmp_gt_u32_e64 s2, 40, v120
	v_and_b32_e32 v116, 0xff, v143
	s_mov_b32 s12, 0x37e14327
	s_mov_b32 s6, 0x36b3c0b5
	;; [unrolled: 1-line block ×3, first 2 shown]
	v_cndmask_b32_e64 v114, v113, v120, s2
	v_mov_b32_e32 v113, 0
	v_mul_lo_u16 v112, 0xcd, v112
	v_mul_lo_u16 v116, 0xcd, v116
	s_mov_b32 s10, 0x429ad128
	s_mov_b32 s13, 0x3fe948f6
	;; [unrolled: 1-line block ×3, first 2 shown]
	v_lshrrev_b16 v115, 13, v112
	v_mul_i32_i24_e32 v112, 6, v114
	v_lshrrev_b16 v116, 13, v116
	s_mov_b32 s17, 0x3fe11646
	s_mov_b32 s11, 0xbfebfeb5
	v_mul_lo_u16 v119, v115, 40
	v_lshlrev_b64 v[117:118], 4, v[112:113]
	s_mov_b32 s14, 0xaaaaaaaa
	s_mov_b32 s18, 0x5476071b
	;; [unrolled: 1-line block ×3, first 2 shown]
	v_sub_nc_u16 v112, v130, v119
	s_mov_b32 s15, 0xbff2aaaa
	v_add_co_u32 v123, s2, s4, v117
	s_delay_alu instid0(VALU_DEP_1) | instskip(NEXT) | instid1(VALU_DEP_3)
	v_add_co_ci_u32_e64 v124, s2, s5, v118, s2
	v_and_b32_e32 v112, 0xff, v112
	v_mul_lo_u16 v117, v116, 40
	s_clause 0x3
	global_load_b128 v[154:157], v[123:124], off offset:608
	global_load_b128 v[158:161], v[123:124], off offset:624
	;; [unrolled: 1-line block ×4, first 2 shown]
	v_mul_u32_u24_e32 v118, 6, v112
	v_sub_nc_u16 v117, v143, v117
	s_mov_b32 s19, 0x3fe77f67
	s_mov_b32 s21, 0xbfe77f67
	s_mov_b32 s23, 0xbfd5d0dc
	v_lshlrev_b32_e32 v118, 4, v118
	v_and_b32_e32 v117, 0xff, v117
	s_mov_b32 s25, 0x3fd5d0dc
	s_mov_b32 s20, s18
	;; [unrolled: 1-line block ×3, first 2 shown]
	s_clause 0x3
	global_load_b128 v[170:173], v118, s[4:5] offset:608
	global_load_b128 v[174:177], v118, s[4:5] offset:624
	global_load_b128 v[178:181], v118, s[4:5] offset:688
	global_load_b128 v[182:185], v118, s[4:5] offset:672
	v_mul_u32_u24_e32 v119, 6, v117
	s_mov_b32 s26, 0x37c3f68c
	s_mov_b32 s27, 0xbfdc38aa
	v_cmp_lt_u32_e64 s2, 39, v120
	v_and_b32_e32 v115, 0xffff, v115
	v_lshlrev_b32_e32 v119, 4, v119
	s_clause 0x9
	global_load_b128 v[186:189], v[123:124], off offset:640
	global_load_b128 v[190:193], v[123:124], off offset:656
	global_load_b128 v[194:197], v119, s[4:5] offset:608
	global_load_b128 v[198:201], v119, s[4:5] offset:624
	;; [unrolled: 1-line block ×8, first 2 shown]
	v_and_b32_e32 v116, 0xffff, v116
	v_lshlrev_b32_e32 v114, 4, v114
	v_mul_u32_u24_e32 v115, 0x1180, v115
	v_lshlrev_b32_e32 v112, 4, v112
	v_lshlrev_b32_e32 v117, 4, v117
	v_mul_u32_u24_e32 v116, 0x1180, v116
	s_waitcnt vmcnt(0) lgkmcnt(0)
	s_barrier
	v_add3_u32 v112, 0, v115, v112
	buffer_gl0_inv
	v_add3_u32 v115, 0, v116, v117
	v_mul_f64 v[118:119], v[94:95], v[156:157]
	v_mul_f64 v[123:124], v[92:93], v[156:157]
	;; [unrolled: 1-line block ×32, first 2 shown]
	v_fma_f64 v[92:93], v[92:93], v[154:155], v[118:119]
	v_fma_f64 v[94:95], v[94:95], v[154:155], -v[123:124]
	v_fma_f64 v[84:85], v[84:85], v[158:159], v[125:126]
	v_fma_f64 v[86:87], v[86:87], v[158:159], -v[128:129]
	v_fma_f64 v[104:105], v[104:105], v[162:163], v[131:132]
	v_fma_f64 v[106:107], v[106:107], v[162:163], -v[149:150]
	v_fma_f64 v[108:109], v[108:109], v[166:167], v[151:152]
	v_fma_f64 v[110:111], v[110:111], v[166:167], -v[156:157]
	v_mul_f64 v[118:119], v[42:43], v[220:221]
	v_mul_f64 v[123:124], v[40:41], v[220:221]
	;; [unrolled: 1-line block ×4, first 2 shown]
	v_fma_f64 v[60:61], v[60:61], v[174:175], v[168:169]
	v_fma_f64 v[96:97], v[96:97], v[170:171], v[160:161]
	v_fma_f64 v[98:99], v[98:99], v[170:171], -v[164:165]
	v_fma_f64 v[62:63], v[62:63], v[174:175], -v[172:173]
	v_fma_f64 v[76:77], v[76:77], v[178:179], v[176:177]
	v_fma_f64 v[78:79], v[78:79], v[178:179], -v[180:181]
	v_fma_f64 v[100:101], v[100:101], v[182:183], v[226:227]
	;; [unrolled: 2-line block ×7, first 2 shown]
	v_fma_f64 v[80:81], v[80:81], v[206:207], v[238:239]
	v_fma_f64 v[82:83], v[82:83], v[206:207], -v[208:209]
	v_fma_f64 v[74:75], v[74:75], v[202:203], -v[204:205]
	v_fma_f64 v[52:53], v[52:53], v[210:211], v[240:241]
	v_fma_f64 v[48:49], v[48:49], v[214:215], v[242:243]
	v_fma_f64 v[54:55], v[54:55], v[210:211], -v[212:213]
	v_fma_f64 v[50:51], v[50:51], v[214:215], -v[216:217]
	v_add_f64 v[131:132], v[92:93], v[104:105]
	v_add_f64 v[149:150], v[94:95], v[106:107]
	;; [unrolled: 1-line block ×4, first 2 shown]
	v_fma_f64 v[40:41], v[40:41], v[218:219], v[118:119]
	v_fma_f64 v[42:43], v[42:43], v[218:219], -v[123:124]
	v_fma_f64 v[44:45], v[44:45], v[222:223], v[125:126]
	v_fma_f64 v[46:47], v[46:47], v[222:223], -v[128:129]
	v_add_f64 v[84:85], v[84:85], -v[108:109]
	v_add_f64 v[86:87], v[86:87], -v[110:111]
	;; [unrolled: 1-line block ×4, first 2 shown]
	v_add_f64 v[118:119], v[96:97], v[76:77]
	v_add_f64 v[123:124], v[98:99], v[78:79]
	;; [unrolled: 1-line block ×4, first 2 shown]
	v_add_f64 v[60:61], v[60:61], -v[100:101]
	v_add_f64 v[62:63], v[62:63], -v[102:103]
	v_add_f64 v[108:109], v[88:89], v[56:57]
	v_add_f64 v[156:157], v[90:91], v[58:59]
	v_add_f64 v[56:57], v[56:57], -v[88:89]
	v_add_f64 v[58:59], v[58:59], -v[90:91]
	v_add_f64 v[110:111], v[68:69], v[72:73]
	v_add_f64 v[88:89], v[64:65], v[80:81]
	;; [unrolled: 1-line block ×4, first 2 shown]
	v_add_f64 v[68:69], v[68:69], -v[72:73]
	v_add_f64 v[104:105], v[52:53], v[48:49]
	v_add_f64 v[48:49], v[48:49], -v[52:53]
	v_add_f64 v[106:107], v[54:55], v[50:51]
	v_add_f64 v[50:51], v[50:51], -v[54:55]
	v_add_f64 v[54:55], v[96:97], -v[76:77]
	;; [unrolled: 1-line block ×6, first 2 shown]
	v_add_f64 v[52:53], v[151:152], v[131:132]
	v_add_f64 v[100:101], v[154:155], v[149:150]
	v_add_f64 v[80:81], v[154:155], -v[149:150]
	v_add_f64 v[72:73], v[40:41], v[44:45]
	v_add_f64 v[40:41], v[44:45], -v[40:41]
	;; [unrolled: 2-line block ×3, first 2 shown]
	v_add_f64 v[46:47], v[151:152], -v[131:132]
	v_add_f64 v[44:45], v[125:126], v[118:119]
	v_add_f64 v[78:79], v[128:129], v[123:124]
	v_add_f64 v[164:165], v[125:126], -v[118:119]
	v_add_f64 v[166:167], v[128:129], -v[123:124]
	;; [unrolled: 1-line block ×6, first 2 shown]
	v_add_f64 v[131:132], v[56:57], v[84:85]
	v_add_f64 v[149:150], v[58:59], v[86:87]
	v_add_f64 v[151:152], v[56:57], -v[84:85]
	v_add_f64 v[154:155], v[110:111], v[88:89]
	v_add_f64 v[162:163], v[58:59], -v[86:87]
	;; [unrolled: 2-line block ×3, first 2 shown]
	v_add_f64 v[86:87], v[86:87], -v[94:95]
	v_add_f64 v[118:119], v[118:119], -v[104:105]
	;; [unrolled: 1-line block ×3, first 2 shown]
	v_add_f64 v[168:169], v[48:49], v[60:61]
	v_add_f64 v[170:171], v[50:51], -v[62:63]
	v_add_f64 v[125:126], v[104:105], -v[125:126]
	;; [unrolled: 1-line block ×7, first 2 shown]
	v_add_f64 v[52:53], v[108:109], v[52:53]
	v_add_f64 v[100:101], v[156:157], v[100:101]
	v_add_f64 v[156:157], v[48:49], -v[60:61]
	v_add_f64 v[108:109], v[50:51], v[62:63]
	v_add_f64 v[60:61], v[60:61], -v[54:55]
	v_add_f64 v[62:63], v[62:63], -v[76:77]
	v_add_f64 v[176:177], v[40:41], v[68:69]
	v_add_f64 v[88:89], v[88:89], -v[72:73]
	v_add_f64 v[90:91], v[90:91], -v[74:75]
	v_add_f64 v[178:179], v[42:43], -v[70:71]
	v_add_f64 v[158:159], v[74:75], -v[158:159]
	v_add_f64 v[48:49], v[54:55], -v[48:49]
	v_add_f64 v[44:45], v[104:105], v[44:45]
	v_add_f64 v[78:79], v[106:107], v[78:79]
	v_add_f64 v[106:107], v[72:73], -v[110:111]
	v_add_f64 v[110:111], v[40:41], -v[68:69]
	v_add_f64 v[104:105], v[42:43], v[70:71]
	v_add_f64 v[68:69], v[68:69], -v[64:65]
	v_add_f64 v[70:71], v[70:71], -v[66:67]
	v_mul_f64 v[82:83], v[82:83], s[12:13]
	v_mul_f64 v[96:97], v[96:97], s[12:13]
	v_add_f64 v[92:93], v[131:132], v[92:93]
	v_mul_f64 v[151:152], v[151:152], s[16:17]
	v_add_f64 v[72:73], v[72:73], v[154:155]
	;; [unrolled: 2-line block ×3, first 2 shown]
	v_mul_f64 v[160:161], v[102:103], s[6:7]
	v_mul_f64 v[162:163], v[162:163], s[16:17]
	v_add_f64 v[94:95], v[149:150], v[94:95]
	v_mul_f64 v[131:132], v[84:85], s[10:11]
	v_mul_f64 v[149:150], v[86:87], s[10:11]
	v_add_f64 v[50:51], v[76:77], -v[50:51]
	v_mul_f64 v[118:119], v[118:119], s[12:13]
	v_mul_f64 v[123:124], v[123:124], s[12:13]
	v_add_f64 v[54:55], v[168:169], v[54:55]
	v_mul_f64 v[168:169], v[170:171], s[16:17]
	v_mul_f64 v[180:181], v[125:126], s[6:7]
	;; [unrolled: 1-line block ×3, first 2 shown]
	v_add_f64 v[32:33], v[32:33], v[52:53]
	v_add_f64 v[34:35], v[34:35], v[100:101]
	v_mul_f64 v[156:157], v[156:157], s[16:17]
	v_add_f64 v[76:77], v[108:109], v[76:77]
	v_mul_f64 v[108:109], v[60:61], s[10:11]
	v_mul_f64 v[170:171], v[62:63], s[10:11]
	v_add_f64 v[40:41], v[64:65], -v[40:41]
	v_add_f64 v[42:43], v[66:67], -v[42:43]
	v_add_f64 v[64:65], v[176:177], v[64:65]
	v_mul_f64 v[88:89], v[88:89], s[12:13]
	v_mul_f64 v[90:91], v[90:91], s[12:13]
	;; [unrolled: 1-line block ×3, first 2 shown]
	v_add_f64 v[36:37], v[36:37], v[44:45]
	v_add_f64 v[38:39], v[38:39], v[78:79]
	v_mul_f64 v[178:179], v[158:159], s[6:7]
	v_mul_f64 v[110:111], v[110:111], s[16:17]
	v_add_f64 v[66:67], v[104:105], v[66:67]
	v_mul_f64 v[184:185], v[68:69], s[10:11]
	v_mul_f64 v[186:187], v[70:71], s[10:11]
	;; [unrolled: 1-line block ×3, first 2 shown]
	v_fma_f64 v[98:99], v[98:99], s[6:7], v[82:83]
	v_fma_f64 v[102:103], v[102:103], s[6:7], v[96:97]
	v_fma_f64 v[84:85], v[84:85], s[10:11], -v[151:152]
	v_add_f64 v[28:29], v[28:29], v[72:73]
	v_fma_f64 v[154:155], v[46:47], s[18:19], -v[154:155]
	v_add_f64 v[30:31], v[30:31], v[74:75]
	v_fma_f64 v[160:161], v[80:81], s[18:19], -v[160:161]
	v_fma_f64 v[46:47], v[46:47], s[20:21], -v[82:83]
	;; [unrolled: 1-line block ×3, first 2 shown]
	v_fma_f64 v[82:83], v[56:57], s[22:23], v[151:152]
	v_fma_f64 v[96:97], v[58:59], s[22:23], v[162:163]
	v_fma_f64 v[86:87], v[86:87], s[10:11], -v[162:163]
	v_fma_f64 v[56:57], v[56:57], s[24:25], -v[131:132]
	;; [unrolled: 1-line block ×3, first 2 shown]
	v_fma_f64 v[125:126], v[125:126], s[6:7], v[118:119]
	v_fma_f64 v[128:129], v[128:129], s[6:7], v[123:124]
	;; [unrolled: 1-line block ×3, first 2 shown]
	v_fma_f64 v[118:119], v[164:165], s[20:21], -v[118:119]
	v_fma_f64 v[52:53], v[52:53], s[14:15], v[32:33]
	v_fma_f64 v[100:101], v[100:101], s[14:15], v[34:35]
	;; [unrolled: 1-line block ×3, first 2 shown]
	v_fma_f64 v[131:132], v[164:165], s[18:19], -v[180:181]
	v_fma_f64 v[48:49], v[48:49], s[24:25], -v[108:109]
	;; [unrolled: 1-line block ×7, first 2 shown]
	v_fma_f64 v[106:107], v[106:107], s[6:7], v[88:89]
	v_fma_f64 v[123:124], v[158:159], s[6:7], v[90:91]
	;; [unrolled: 1-line block ×6, first 2 shown]
	v_fma_f64 v[88:89], v[172:173], s[20:21], -v[88:89]
	v_fma_f64 v[40:41], v[40:41], s[24:25], -v[184:185]
	;; [unrolled: 1-line block ×7, first 2 shown]
	v_fma_f64 v[72:73], v[72:73], s[14:15], v[28:29]
	v_fma_f64 v[110:111], v[174:175], s[18:19], -v[178:179]
	v_fma_f64 v[74:75], v[74:75], s[14:15], v[30:31]
	v_fma_f64 v[84:85], v[92:93], s[26:27], v[84:85]
	;; [unrolled: 1-line block ×7, first 2 shown]
	v_add_f64 v[94:95], v[98:99], v[52:53]
	v_add_f64 v[98:99], v[102:103], v[100:101]
	;; [unrolled: 1-line block ×6, first 2 shown]
	v_fma_f64 v[102:103], v[54:55], s[26:27], v[151:152]
	v_fma_f64 v[151:152], v[76:77], s[26:27], v[162:163]
	v_fma_f64 v[162:163], v[54:55], s[26:27], v[48:49]
	v_fma_f64 v[164:165], v[76:77], s[26:27], v[50:51]
	v_fma_f64 v[154:155], v[54:55], s[26:27], v[60:61]
	v_fma_f64 v[160:161], v[76:77], s[26:27], v[62:63]
	v_add_f64 v[125:126], v[125:126], v[44:45]
	v_add_f64 v[128:129], v[128:129], v[78:79]
	;; [unrolled: 1-line block ×6, first 2 shown]
	v_fma_f64 v[131:132], v[64:65], s[26:27], v[156:157]
	v_fma_f64 v[149:150], v[66:67], s[26:27], v[158:159]
	;; [unrolled: 1-line block ×5, first 2 shown]
	v_add_f64 v[170:171], v[106:107], v[72:73]
	v_add_f64 v[106:107], v[88:89], v[72:73]
	;; [unrolled: 1-line block ×4, first 2 shown]
	v_fma_f64 v[158:159], v[66:67], s[26:27], v[70:71]
	v_add_f64 v[104:105], v[104:105], v[72:73]
	v_add_f64 v[110:111], v[110:111], v[74:75]
	;; [unrolled: 1-line block ×3, first 2 shown]
	v_add_f64 v[42:43], v[98:99], -v[82:83]
	v_add_f64 v[44:45], v[56:57], v[58:59]
	v_add_f64 v[46:47], v[80:81], -v[92:93]
	v_add_f64 v[48:49], v[52:53], -v[86:87]
	v_add_f64 v[50:51], v[84:85], v[100:101]
	v_add_f64 v[52:53], v[86:87], v[52:53]
	v_add_f64 v[54:55], v[100:101], -v[84:85]
	v_add_f64 v[56:57], v[58:59], -v[56:57]
	v_add_f64 v[58:59], v[92:93], v[80:81]
	v_add_f64 v[60:61], v[94:95], -v[96:97]
	v_add_f64 v[62:63], v[82:83], v[98:99]
	v_add_f64 v[64:65], v[151:152], v[125:126]
	v_add_f64 v[66:67], v[128:129], -v[102:103]
	v_add_f64 v[68:69], v[164:165], v[118:119]
	v_add_f64 v[70:71], v[108:109], -v[162:163]
	v_add_f64 v[72:73], v[76:77], -v[160:161]
	v_add_f64 v[74:75], v[154:155], v[78:79]
	v_add_f64 v[76:77], v[160:161], v[76:77]
	v_add_f64 v[78:79], v[78:79], -v[154:155]
	v_add_f64 v[80:81], v[118:119], -v[164:165]
	v_add_f64 v[82:83], v[162:163], v[108:109]
	v_add_f64 v[84:85], v[125:126], -v[151:152]
	v_add_f64 v[86:87], v[102:103], v[128:129]
	v_add_f64 v[88:89], v[149:150], v[170:171]
	v_add_f64 v[90:91], v[123:124], -v[131:132]
	v_add_f64 v[92:93], v[168:169], v[106:107]
	v_add_f64 v[94:95], v[172:173], -v[166:167]
	v_add_f64 v[96:97], v[104:105], -v[158:159]
	v_add_f64 v[98:99], v[156:157], v[110:111]
	v_add_f64 v[100:101], v[158:159], v[104:105]
	v_add_f64 v[102:103], v[110:111], -v[156:157]
	v_add_f64 v[104:105], v[106:107], -v[168:169]
	v_add_f64 v[106:107], v[166:167], v[172:173]
	v_add_f64 v[108:109], v[170:171], -v[149:150]
	v_add_f64 v[110:111], v[131:132], v[123:124]
	v_cndmask_b32_e64 v118, 0, 0x1180, s2
	s_delay_alu instid0(VALU_DEP_1)
	v_add3_u32 v114, 0, v118, v114
	ds_store_b128 v114, v[32:35]
	ds_store_b128 v114, v[40:43] offset:640
	ds_store_b128 v114, v[44:47] offset:1280
	ds_store_b128 v114, v[48:51] offset:1920
	ds_store_b128 v114, v[52:55] offset:2560
	ds_store_b128 v114, v[56:59] offset:3200
	ds_store_b128 v114, v[60:63] offset:3840
	ds_store_b128 v112, v[36:39]
	ds_store_b128 v112, v[64:67] offset:640
	ds_store_b128 v112, v[68:71] offset:1280
	ds_store_b128 v112, v[72:75] offset:1920
	ds_store_b128 v112, v[76:79] offset:2560
	ds_store_b128 v112, v[80:83] offset:3200
	ds_store_b128 v112, v[84:87] offset:3840
	;; [unrolled: 7-line block ×3, first 2 shown]
	s_and_saveexec_b32 s2, s1
	s_cbranch_execz .LBB0_27
; %bb.26:
	v_and_b32_e32 v28, 0xff, v142
	s_delay_alu instid0(VALU_DEP_1) | instskip(NEXT) | instid1(VALU_DEP_1)
	v_mul_lo_u16 v28, 0xcd, v28
	v_lshrrev_b16 v28, 13, v28
	s_delay_alu instid0(VALU_DEP_1) | instskip(NEXT) | instid1(VALU_DEP_1)
	v_mul_lo_u16 v28, v28, 40
	v_sub_nc_u16 v28, v142, v28
	s_delay_alu instid0(VALU_DEP_1) | instskip(NEXT) | instid1(VALU_DEP_1)
	v_and_b32_e32 v64, 0xff, v28
	v_mul_u32_u24_e32 v28, 6, v64
	s_delay_alu instid0(VALU_DEP_1)
	v_lshlrev_b32_e32 v48, 4, v28
	s_clause 0x5
	global_load_b128 v[28:31], v48, s[4:5] offset:624
	global_load_b128 v[32:35], v48, s[4:5] offset:672
	;; [unrolled: 1-line block ×6, first 2 shown]
	s_waitcnt vmcnt(5)
	v_mul_f64 v[52:53], v[12:13], v[30:31]
	s_waitcnt vmcnt(4)
	v_mul_f64 v[54:55], v[20:21], v[34:35]
	s_waitcnt vmcnt(3)
	v_mul_f64 v[56:57], v[8:9], v[38:39]
	s_waitcnt vmcnt(2)
	v_mul_f64 v[58:59], v[24:25], v[42:43]
	v_mul_f64 v[30:31], v[14:15], v[30:31]
	v_mul_f64 v[34:35], v[22:23], v[34:35]
	;; [unrolled: 1-line block ×4, first 2 shown]
	s_waitcnt vmcnt(1)
	v_mul_f64 v[60:61], v[2:3], v[46:47]
	s_waitcnt vmcnt(0)
	v_mul_f64 v[62:63], v[18:19], v[50:51]
	v_mul_f64 v[50:51], v[16:17], v[50:51]
	v_mul_f64 v[46:47], v[0:1], v[46:47]
	v_fma_f64 v[14:15], v[14:15], v[28:29], -v[52:53]
	v_fma_f64 v[22:23], v[22:23], v[32:33], -v[54:55]
	;; [unrolled: 1-line block ×4, first 2 shown]
	v_fma_f64 v[12:13], v[12:13], v[28:29], v[30:31]
	v_fma_f64 v[20:21], v[20:21], v[32:33], v[34:35]
	;; [unrolled: 1-line block ×6, first 2 shown]
	v_fma_f64 v[18:19], v[18:19], v[48:49], -v[50:51]
	v_fma_f64 v[2:3], v[2:3], v[44:45], -v[46:47]
	v_add_f64 v[28:29], v[14:15], v[22:23]
	v_add_f64 v[14:15], v[14:15], -v[22:23]
	v_add_f64 v[30:31], v[10:11], v[26:27]
	v_add_f64 v[10:11], v[10:11], -v[26:27]
	v_add_f64 v[32:33], v[12:13], v[20:21]
	v_add_f64 v[12:13], v[12:13], -v[20:21]
	v_add_f64 v[34:35], v[8:9], v[24:25]
	v_add_f64 v[8:9], v[8:9], -v[24:25]
	v_add_f64 v[36:37], v[0:1], -v[16:17]
	v_add_f64 v[0:1], v[16:17], v[0:1]
	v_add_f64 v[20:21], v[18:19], v[2:3]
	v_add_f64 v[2:3], v[2:3], -v[18:19]
	v_add_f64 v[16:17], v[28:29], v[30:31]
	v_add_f64 v[42:43], v[14:15], -v[10:11]
	;; [unrolled: 2-line block ×3, first 2 shown]
	v_add_f64 v[22:23], v[36:37], -v[12:13]
	v_add_f64 v[26:27], v[34:35], -v[0:1]
	;; [unrolled: 1-line block ×5, first 2 shown]
	v_add_f64 v[12:13], v[36:37], v[12:13]
	v_add_f64 v[36:37], v[8:9], -v[36:37]
	v_add_f64 v[14:15], v[2:3], v[14:15]
	v_add_f64 v[48:49], v[10:11], -v[2:3]
	;; [unrolled: 2-line block ×3, first 2 shown]
	v_add_f64 v[18:19], v[0:1], v[18:19]
	v_mul_f64 v[46:47], v[38:39], s[10:11]
	v_mul_f64 v[22:23], v[22:23], s[16:17]
	;; [unrolled: 1-line block ×4, first 2 shown]
	v_add_f64 v[8:9], v[12:13], v[8:9]
	v_add_f64 v[10:11], v[14:15], v[10:11]
	;; [unrolled: 1-line block ×3, first 2 shown]
	v_add_f64 v[6:7], v[28:29], -v[30:31]
	v_mul_f64 v[28:29], v[20:21], s[6:7]
	v_mul_f64 v[30:31], v[40:41], s[16:17]
	v_add_f64 v[0:1], v[4:5], v[18:19]
	v_mul_f64 v[40:41], v[42:43], s[10:11]
	v_add_f64 v[4:5], v[32:33], -v[34:35]
	v_mul_f64 v[32:33], v[44:45], s[6:7]
	v_fma_f64 v[12:13], v[36:37], s[22:23], v[22:23]
	v_fma_f64 v[14:15], v[20:21], s[6:7], v[24:25]
	;; [unrolled: 1-line block ×3, first 2 shown]
	v_fma_f64 v[34:35], v[36:37], s[24:25], -v[46:47]
	v_fma_f64 v[22:23], v[38:39], s[10:11], -v[22:23]
	v_fma_f64 v[16:17], v[16:17], s[14:15], v[2:3]
	v_fma_f64 v[24:25], v[6:7], s[20:21], -v[24:25]
	v_fma_f64 v[6:7], v[6:7], s[18:19], -v[28:29]
	v_fma_f64 v[28:29], v[48:49], s[22:23], v[30:31]
	v_fma_f64 v[18:19], v[18:19], s[14:15], v[0:1]
	v_fma_f64 v[36:37], v[48:49], s[24:25], -v[40:41]
	v_fma_f64 v[26:27], v[4:5], s[20:21], -v[26:27]
	;; [unrolled: 1-line block ×4, first 2 shown]
	v_fma_f64 v[12:13], v[8:9], s[26:27], v[12:13]
	v_fma_f64 v[32:33], v[8:9], s[26:27], v[34:35]
	;; [unrolled: 1-line block ×3, first 2 shown]
	v_add_f64 v[34:35], v[14:15], v[16:17]
	v_add_f64 v[22:23], v[24:25], v[16:17]
	;; [unrolled: 1-line block ×3, first 2 shown]
	v_fma_f64 v[28:29], v[10:11], s[26:27], v[28:29]
	v_add_f64 v[38:39], v[20:21], v[18:19]
	v_fma_f64 v[36:37], v[10:11], s[26:27], v[36:37]
	v_add_f64 v[40:41], v[26:27], v[18:19]
	;; [unrolled: 2-line block ×3, first 2 shown]
	v_add_f64 v[26:27], v[34:35], -v[12:13]
	v_add_f64 v[10:11], v[32:33], v[22:23]
	v_add_f64 v[22:23], v[22:23], -v[32:33]
	v_add_f64 v[14:15], v[16:17], -v[8:9]
	v_add_f64 v[24:25], v[28:29], v[38:39]
	v_add_f64 v[18:19], v[8:9], v[16:17]
	;; [unrolled: 1-line block ×4, first 2 shown]
	v_add_f64 v[16:17], v[4:5], -v[30:31]
	v_add_f64 v[12:13], v[30:31], v[4:5]
	v_add_f64 v[8:9], v[40:41], -v[36:37]
	v_add_f64 v[4:5], v[38:39], -v[28:29]
	v_lshl_add_u32 v28, v64, 4, 0
	ds_store_b128 v28, v[0:3] offset:17920
	ds_store_b128 v28, v[24:27] offset:18560
	;; [unrolled: 1-line block ×7, first 2 shown]
.LBB0_27:
	s_or_b32 exec_lo, exec_lo, s2
	v_lshlrev_b32_e32 v112, 2, v120
	s_waitcnt lgkmcnt(0)
	s_barrier
	buffer_gl0_inv
	scratch_load_b32 v126, off, off offset:52 ; 4-byte Folded Reload
	v_lshlrev_b64 v[0:1], 4, v[112:113]
	v_lshl_add_u32 v122, v140, 4, 0
	v_lshlrev_b32_e32 v112, 2, v130
	s_mov_b32 s10, 0x134454ff
	s_mov_b32 s11, 0xbfee6f0e
	;; [unrolled: 1-line block ×3, first 2 shown]
	v_add_co_u32 v8, s1, s4, v0
	s_delay_alu instid0(VALU_DEP_1) | instskip(SKIP_2) | instid1(VALU_DEP_1)
	v_add_co_ci_u32_e64 v9, s1, s5, v1, s1
	ds_load_b128 v[4:7], v122
	v_add_co_u32 v0, s1, 0x1000, v8
	v_add_co_ci_u32_e64 v1, s1, 0, v9, s1
	v_add_co_u32 v12, s1, 0x1160, v8
	s_delay_alu instid0(VALU_DEP_1)
	v_add_co_ci_u32_e64 v13, s1, 0, v9, s1
	global_load_b128 v[0:3], v[0:1], off offset:352
	s_mov_b32 s12, s10
	s_mov_b32 s2, 0x4755a5e
	global_load_b128 v[14:17], v[12:13], off offset:48
	s_mov_b32 s3, 0xbfe2cf23
	s_mov_b32 s7, 0x3fe2cf23
	;; [unrolled: 1-line block ×5, first 2 shown]
	v_lshl_add_u32 v125, v141, 4, 0
	s_waitcnt vmcnt(2)
	ds_load_b128 v[8:11], v126
	s_waitcnt vmcnt(1) lgkmcnt(1)
	v_mul_f64 v[18:19], v[6:7], v[2:3]
	v_mul_f64 v[20:21], v[4:5], v[2:3]
	s_delay_alu instid0(VALU_DEP_2) | instskip(NEXT) | instid1(VALU_DEP_2)
	v_fma_f64 v[2:3], v[4:5], v[0:1], v[18:19]
	v_fma_f64 v[0:1], v[6:7], v[0:1], -v[20:21]
	s_clause 0x1
	global_load_b128 v[4:7], v[12:13], off offset:16
	global_load_b128 v[18:21], v[12:13], off offset:32
	s_waitcnt vmcnt(1) lgkmcnt(0)
	v_mul_f64 v[12:13], v[10:11], v[6:7]
	v_mul_f64 v[22:23], v[8:9], v[6:7]
	s_delay_alu instid0(VALU_DEP_2) | instskip(NEXT) | instid1(VALU_DEP_2)
	v_fma_f64 v[6:7], v[8:9], v[4:5], v[12:13]
	v_fma_f64 v[4:5], v[10:11], v[4:5], -v[22:23]
	ds_load_b128 v[22:25], v145 offset:13440
	ds_load_b128 v[26:29], v145 offset:12544
	s_waitcnt vmcnt(0) lgkmcnt(1)
	v_mul_f64 v[8:9], v[24:25], v[20:21]
	v_add_f64 v[104:105], v[6:7], -v[2:3]
	s_delay_alu instid0(VALU_DEP_2) | instskip(SKIP_1) | instid1(VALU_DEP_2)
	v_fma_f64 v[10:11], v[22:23], v[18:19], v[8:9]
	v_mul_f64 v[8:9], v[22:23], v[20:21]
	v_add_f64 v[102:103], v[6:7], -v[10:11]
	s_delay_alu instid0(VALU_DEP_2)
	v_fma_f64 v[8:9], v[24:25], v[18:19], -v[8:9]
	ds_load_b128 v[18:21], v145 offset:17920
	ds_load_b128 v[22:25], v145 offset:18816
	s_waitcnt lgkmcnt(1)
	v_mul_f64 v[12:13], v[20:21], v[16:17]
	v_mul_f64 v[16:17], v[18:19], v[16:17]
	v_add_f64 v[66:67], v[4:5], -v[8:9]
	s_delay_alu instid0(VALU_DEP_3) | instskip(NEXT) | instid1(VALU_DEP_3)
	v_fma_f64 v[12:13], v[18:19], v[14:15], v[12:13]
	v_fma_f64 v[14:15], v[20:21], v[14:15], -v[16:17]
	v_lshlrev_b64 v[16:17], 4, v[112:113]
	v_lshlrev_b32_e32 v112, 2, v143
	s_delay_alu instid0(VALU_DEP_2) | instskip(NEXT) | instid1(VALU_DEP_1)
	v_add_co_u32 v18, s1, s4, v16
	v_add_co_ci_u32_e64 v19, s1, s5, v17, s1
	s_delay_alu instid0(VALU_DEP_2) | instskip(NEXT) | instid1(VALU_DEP_1)
	v_add_co_u32 v16, s1, 0x1000, v18
	v_add_co_ci_u32_e64 v17, s1, 0, v19, s1
	v_add_co_u32 v20, s1, 0x1160, v18
	s_delay_alu instid0(VALU_DEP_1)
	v_add_co_ci_u32_e64 v21, s1, 0, v19, s1
	global_load_b128 v[16:19], v[16:17], off offset:352
	ds_load_b128 v[30:33], v145 offset:5376
	ds_load_b128 v[48:51], v145
	global_load_b128 v[34:37], v[20:21], off offset:48
	v_add_f64 v[100:101], v[2:3], -v[12:13]
	v_add_f64 v[64:65], v[0:1], -v[14:15]
	s_waitcnt vmcnt(1) lgkmcnt(1)
	v_mul_f64 v[38:39], v[32:33], v[18:19]
	v_mul_f64 v[18:19], v[30:31], v[18:19]
	s_delay_alu instid0(VALU_DEP_2) | instskip(NEXT) | instid1(VALU_DEP_2)
	v_fma_f64 v[68:69], v[30:31], v[16:17], v[38:39]
	v_fma_f64 v[70:71], v[32:33], v[16:17], -v[18:19]
	s_clause 0x1
	global_load_b128 v[16:19], v[20:21], off offset:16
	global_load_b128 v[30:33], v[20:21], off offset:32
	ds_load_b128 v[38:41], v145 offset:9856
	ds_load_b128 v[52:55], v145 offset:8064
	s_waitcnt vmcnt(1) lgkmcnt(1)
	v_mul_f64 v[20:21], v[40:41], v[18:19]
	v_mul_f64 v[18:19], v[38:39], v[18:19]
	s_delay_alu instid0(VALU_DEP_2) | instskip(NEXT) | instid1(VALU_DEP_2)
	v_fma_f64 v[72:73], v[38:39], v[16:17], v[20:21]
	v_fma_f64 v[74:75], v[40:41], v[16:17], -v[18:19]
	ds_load_b128 v[16:19], v145 offset:14336
	ds_load_b128 v[38:41], v145 offset:15232
	s_waitcnt vmcnt(0) lgkmcnt(1)
	v_mul_f64 v[20:21], v[18:19], v[32:33]
	s_delay_alu instid0(VALU_DEP_1) | instskip(SKIP_1) | instid1(VALU_DEP_2)
	v_fma_f64 v[76:77], v[16:17], v[30:31], v[20:21]
	v_mul_f64 v[16:17], v[16:17], v[32:33]
	v_add_f64 v[110:111], v[72:73], -v[76:77]
	s_delay_alu instid0(VALU_DEP_2) | instskip(SKIP_1) | instid1(VALU_DEP_2)
	v_fma_f64 v[78:79], v[18:19], v[30:31], -v[16:17]
	v_mul_f64 v[16:17], v[24:25], v[36:37]
	v_add_f64 v[106:107], v[74:75], -v[78:79]
	s_delay_alu instid0(VALU_DEP_2) | instskip(SKIP_1) | instid1(VALU_DEP_2)
	v_fma_f64 v[80:81], v[22:23], v[34:35], v[16:17]
	v_mul_f64 v[16:17], v[22:23], v[36:37]
	v_add_f64 v[108:109], v[68:69], -v[80:81]
	s_delay_alu instid0(VALU_DEP_2) | instskip(SKIP_2) | instid1(VALU_DEP_2)
	v_fma_f64 v[82:83], v[24:25], v[34:35], -v[16:17]
	v_lshlrev_b64 v[16:17], 4, v[112:113]
	v_lshlrev_b32_e32 v112, 2, v142
	v_add_co_u32 v18, s1, s4, v16
	s_delay_alu instid0(VALU_DEP_1) | instskip(NEXT) | instid1(VALU_DEP_2)
	v_add_co_ci_u32_e64 v19, s1, s5, v17, s1
	v_add_co_u32 v16, s1, 0x1000, v18
	s_delay_alu instid0(VALU_DEP_1) | instskip(SKIP_1) | instid1(VALU_DEP_1)
	v_add_co_ci_u32_e64 v17, s1, 0, v19, s1
	v_add_co_u32 v24, s1, 0x1160, v18
	v_add_co_ci_u32_e64 v25, s1, 0, v19, s1
	global_load_b128 v[16:19], v[16:17], off offset:352
	ds_load_b128 v[20:23], v145 offset:6272
	ds_load_b128 v[30:33], v145 offset:7168
	global_load_b128 v[34:37], v[24:25], off offset:48
	s_waitcnt vmcnt(1) lgkmcnt(1)
	v_mul_f64 v[42:43], v[22:23], v[18:19]
	v_mul_f64 v[18:19], v[20:21], v[18:19]
	s_delay_alu instid0(VALU_DEP_2) | instskip(NEXT) | instid1(VALU_DEP_2)
	v_fma_f64 v[84:85], v[20:21], v[16:17], v[42:43]
	v_fma_f64 v[86:87], v[22:23], v[16:17], -v[18:19]
	s_clause 0x1
	global_load_b128 v[16:19], v[24:25], off offset:16
	global_load_b128 v[20:23], v[24:25], off offset:32
	ds_load_b128 v[42:45], v145 offset:10752
	ds_load_b128 v[56:59], v145 offset:11648
	s_waitcnt vmcnt(1) lgkmcnt(1)
	v_mul_f64 v[24:25], v[44:45], v[18:19]
	v_mul_f64 v[18:19], v[42:43], v[18:19]
	s_delay_alu instid0(VALU_DEP_2) | instskip(NEXT) | instid1(VALU_DEP_2)
	v_fma_f64 v[88:89], v[42:43], v[16:17], v[24:25]
	v_fma_f64 v[90:91], v[44:45], v[16:17], -v[18:19]
	s_waitcnt vmcnt(0)
	v_mul_f64 v[16:17], v[40:41], v[22:23]
	s_delay_alu instid0(VALU_DEP_1) | instskip(SKIP_1) | instid1(VALU_DEP_1)
	v_fma_f64 v[92:93], v[38:39], v[20:21], v[16:17]
	v_mul_f64 v[16:17], v[38:39], v[22:23]
	v_fma_f64 v[94:95], v[40:41], v[20:21], -v[16:17]
	ds_load_b128 v[16:19], v145 offset:19712
	ds_load_b128 v[20:23], v145 offset:20608
	s_waitcnt lgkmcnt(1)
	v_mul_f64 v[24:25], v[18:19], v[36:37]
	s_delay_alu instid0(VALU_DEP_1) | instskip(SKIP_1) | instid1(VALU_DEP_1)
	v_fma_f64 v[96:97], v[16:17], v[34:35], v[24:25]
	v_mul_f64 v[16:17], v[16:17], v[36:37]
	v_fma_f64 v[98:99], v[18:19], v[34:35], -v[16:17]
	v_lshlrev_b64 v[16:17], 4, v[112:113]
	v_lshlrev_b32_e32 v112, 2, v141
	s_delay_alu instid0(VALU_DEP_2) | instskip(NEXT) | instid1(VALU_DEP_1)
	v_add_co_u32 v18, s1, s4, v16
	v_add_co_ci_u32_e64 v19, s1, s5, v17, s1
	s_delay_alu instid0(VALU_DEP_2) | instskip(NEXT) | instid1(VALU_DEP_1)
	v_add_co_u32 v16, s1, 0x1000, v18
	v_add_co_ci_u32_e64 v17, s1, 0, v19, s1
	v_add_co_u32 v24, s1, 0x1160, v18
	s_delay_alu instid0(VALU_DEP_1)
	v_add_co_ci_u32_e64 v25, s1, 0, v19, s1
	s_clause 0x1
	global_load_b128 v[16:19], v[16:17], off offset:352
	global_load_b128 v[60:63], v[24:25], off offset:48
	s_waitcnt vmcnt(1)
	v_mul_f64 v[34:35], v[32:33], v[18:19]
	v_mul_f64 v[18:19], v[30:31], v[18:19]
	s_delay_alu instid0(VALU_DEP_2) | instskip(NEXT) | instid1(VALU_DEP_2)
	v_fma_f64 v[34:35], v[30:31], v[16:17], v[34:35]
	v_fma_f64 v[32:33], v[32:33], v[16:17], -v[18:19]
	s_clause 0x1
	global_load_b128 v[16:19], v[24:25], off offset:16
	global_load_b128 v[44:47], v[24:25], off offset:32
	s_waitcnt vmcnt(1)
	v_mul_f64 v[24:25], v[58:59], v[18:19]
	v_mul_f64 v[18:19], v[56:57], v[18:19]
	s_delay_alu instid0(VALU_DEP_2) | instskip(NEXT) | instid1(VALU_DEP_2)
	v_fma_f64 v[36:37], v[56:57], v[16:17], v[24:25]
	v_fma_f64 v[38:39], v[58:59], v[16:17], -v[18:19]
	ds_load_b128 v[16:19], v145 offset:16128
	ds_load_b128 v[56:59], v145 offset:17024
	s_waitcnt vmcnt(0) lgkmcnt(1)
	v_mul_f64 v[24:25], v[18:19], v[46:47]
	v_add_f64 v[123:124], v[36:37], -v[34:35]
	s_delay_alu instid0(VALU_DEP_2) | instskip(SKIP_1) | instid1(VALU_DEP_2)
	v_fma_f64 v[42:43], v[16:17], v[44:45], v[24:25]
	v_mul_f64 v[16:17], v[16:17], v[46:47]
	v_add_f64 v[118:119], v[36:37], -v[42:43]
	s_delay_alu instid0(VALU_DEP_2) | instskip(SKIP_1) | instid1(VALU_DEP_2)
	v_fma_f64 v[40:41], v[18:19], v[44:45], -v[16:17]
	v_mul_f64 v[16:17], v[22:23], v[62:63]
	v_add_f64 v[114:115], v[38:39], -v[40:41]
	s_delay_alu instid0(VALU_DEP_2) | instskip(SKIP_1) | instid1(VALU_DEP_2)
	v_fma_f64 v[44:45], v[20:21], v[60:61], v[16:17]
	v_mul_f64 v[16:17], v[20:21], v[62:63]
	v_add_f64 v[116:117], v[34:35], -v[44:45]
	s_delay_alu instid0(VALU_DEP_2) | instskip(SKIP_1) | instid1(VALU_DEP_1)
	v_fma_f64 v[46:47], v[22:23], v[60:61], -v[16:17]
	v_lshlrev_b64 v[16:17], 4, v[112:113]
	v_add_co_u32 v18, s1, s4, v16
	s_delay_alu instid0(VALU_DEP_1) | instskip(NEXT) | instid1(VALU_DEP_2)
	v_add_co_ci_u32_e64 v19, s1, s5, v17, s1
	v_add_co_u32 v16, s1, 0x1000, v18
	s_delay_alu instid0(VALU_DEP_1) | instskip(SKIP_1) | instid1(VALU_DEP_1)
	v_add_co_ci_u32_e64 v17, s1, 0, v19, s1
	v_add_co_u32 v24, s1, 0x1160, v18
	v_add_co_ci_u32_e64 v25, s1, 0, v19, s1
	s_clause 0x1
	global_load_b128 v[20:23], v[16:17], off offset:352
	global_load_b128 v[60:63], v[24:25], off offset:48
	v_add_f64 v[112:113], v[32:33], -v[46:47]
	s_waitcnt vmcnt(1)
	v_mul_f64 v[16:17], v[54:55], v[22:23]
	s_delay_alu instid0(VALU_DEP_1) | instskip(SKIP_1) | instid1(VALU_DEP_1)
	v_fma_f64 v[18:19], v[52:53], v[20:21], v[16:17]
	v_mul_f64 v[16:17], v[52:53], v[22:23]
	v_fma_f64 v[16:17], v[54:55], v[20:21], -v[16:17]
	s_clause 0x1
	global_load_b128 v[20:23], v[24:25], off offset:16
	global_load_b128 v[52:55], v[24:25], off offset:32
	s_waitcnt vmcnt(1)
	v_mul_f64 v[24:25], v[28:29], v[22:23]
	v_mul_f64 v[22:23], v[26:27], v[22:23]
	s_delay_alu instid0(VALU_DEP_2) | instskip(NEXT) | instid1(VALU_DEP_2)
	v_fma_f64 v[24:25], v[26:27], v[20:21], v[24:25]
	v_fma_f64 v[26:27], v[28:29], v[20:21], -v[22:23]
	s_waitcnt vmcnt(0) lgkmcnt(0)
	v_mul_f64 v[20:21], v[58:59], v[54:55]
	s_delay_alu instid0(VALU_DEP_1) | instskip(SKIP_1) | instid1(VALU_DEP_1)
	v_fma_f64 v[22:23], v[56:57], v[52:53], v[20:21]
	v_mul_f64 v[20:21], v[56:57], v[54:55]
	v_fma_f64 v[20:21], v[58:59], v[52:53], -v[20:21]
	ds_load_b128 v[52:55], v145 offset:21504
	s_waitcnt lgkmcnt(0)
	v_mul_f64 v[28:29], v[54:55], v[62:63]
	v_mul_f64 v[30:31], v[52:53], v[62:63]
	s_delay_alu instid0(VALU_DEP_2) | instskip(NEXT) | instid1(VALU_DEP_2)
	v_fma_f64 v[28:29], v[52:53], v[60:61], v[28:29]
	v_fma_f64 v[30:31], v[54:55], v[60:61], -v[30:31]
	v_add_f64 v[52:53], v[2:3], -v[6:7]
	v_add_f64 v[54:55], v[12:13], -v[10:11]
	s_delay_alu instid0(VALU_DEP_1) | instskip(SKIP_2) | instid1(VALU_DEP_1)
	v_add_f64 v[56:57], v[52:53], v[54:55]
	v_add_f64 v[52:53], v[0:1], -v[4:5]
	v_add_f64 v[54:55], v[14:15], -v[8:9]
	v_add_f64 v[58:59], v[52:53], v[54:55]
	v_add_f64 v[52:53], v[6:7], v[10:11]
	s_delay_alu instid0(VALU_DEP_1) | instskip(SKIP_1) | instid1(VALU_DEP_1)
	v_fma_f64 v[60:61], v[52:53], -0.5, v[48:49]
	v_add_f64 v[52:53], v[4:5], v[8:9]
	v_fma_f64 v[62:63], v[52:53], -0.5, v[50:51]
	s_delay_alu instid0(VALU_DEP_3) | instskip(SKIP_1) | instid1(VALU_DEP_3)
	v_fma_f64 v[52:53], v[64:65], s[10:11], v[60:61]
	v_fma_f64 v[60:61], v[64:65], s[12:13], v[60:61]
	;; [unrolled: 1-line block ×4, first 2 shown]
	s_delay_alu instid0(VALU_DEP_4) | instskip(NEXT) | instid1(VALU_DEP_4)
	v_fma_f64 v[52:53], v[66:67], s[2:3], v[52:53]
	v_fma_f64 v[60:61], v[66:67], s[6:7], v[60:61]
	s_delay_alu instid0(VALU_DEP_4) | instskip(NEXT) | instid1(VALU_DEP_4)
	v_fma_f64 v[54:55], v[102:103], s[6:7], v[54:55]
	v_fma_f64 v[62:63], v[102:103], s[2:3], v[62:63]
	;; [unrolled: 3-line block ×3, first 2 shown]
	v_add_f64 v[60:61], v[2:3], v[12:13]
	v_fma_f64 v[54:55], v[58:59], s[14:15], v[54:55]
	v_fma_f64 v[58:59], v[58:59], s[14:15], v[62:63]
	v_add_f64 v[62:63], v[0:1], v[14:15]
	s_delay_alu instid0(VALU_DEP_4) | instskip(SKIP_1) | instid1(VALU_DEP_3)
	v_fma_f64 v[60:61], v[60:61], -0.5, v[48:49]
	v_add_f64 v[48:49], v[48:49], v[2:3]
	v_fma_f64 v[62:63], v[62:63], -0.5, v[50:51]
	v_add_f64 v[50:51], v[50:51], v[0:1]
	s_delay_alu instid0(VALU_DEP_3) | instskip(NEXT) | instid1(VALU_DEP_3)
	v_add_f64 v[2:3], v[48:49], v[6:7]
	v_fma_f64 v[48:49], v[102:103], s[12:13], v[62:63]
	s_delay_alu instid0(VALU_DEP_3) | instskip(SKIP_1) | instid1(VALU_DEP_4)
	v_add_f64 v[6:7], v[50:51], v[4:5]
	v_add_f64 v[4:5], v[4:5], -v[0:1]
	v_add_f64 v[0:1], v[2:3], v[10:11]
	s_delay_alu instid0(VALU_DEP_3) | instskip(SKIP_1) | instid1(VALU_DEP_3)
	v_add_f64 v[2:3], v[6:7], v[8:9]
	v_add_f64 v[6:7], v[10:11], -v[12:13]
	v_add_f64 v[0:1], v[0:1], v[12:13]
	v_add_f64 v[8:9], v[8:9], -v[14:15]
	v_fma_f64 v[12:13], v[66:67], s[10:11], v[60:61]
	v_fma_f64 v[10:11], v[66:67], s[12:13], v[60:61]
	v_add_f64 v[2:3], v[2:3], v[14:15]
	v_fma_f64 v[14:15], v[102:103], s[10:11], v[62:63]
	v_add_f64 v[50:51], v[104:105], v[6:7]
	v_add_f64 v[60:61], v[4:5], v[8:9]
	v_fma_f64 v[8:9], v[64:65], s[6:7], v[12:13]
	v_add_f64 v[12:13], v[68:69], -v[72:73]
	v_fma_f64 v[4:5], v[64:65], s[2:3], v[10:11]
	v_fma_f64 v[10:11], v[100:101], s[2:3], v[48:49]
	v_add_f64 v[104:105], v[70:71], -v[82:83]
	v_fma_f64 v[6:7], v[100:101], s[6:7], v[14:15]
	v_add_f64 v[14:15], v[80:81], -v[76:77]
	v_fma_f64 v[8:9], v[50:51], s[14:15], v[8:9]
	v_fma_f64 v[4:5], v[50:51], s[14:15], v[4:5]
	v_fma_f64 v[10:11], v[60:61], s[14:15], v[10:11]
	v_fma_f64 v[6:7], v[60:61], s[14:15], v[6:7]
	v_add_f64 v[64:65], v[12:13], v[14:15]
	v_add_f64 v[12:13], v[70:71], -v[74:75]
	v_add_f64 v[14:15], v[82:83], -v[78:79]
	v_add_f64 v[60:61], v[72:73], v[76:77]
	s_delay_alu instid0(VALU_DEP_2)
	v_add_f64 v[66:67], v[12:13], v[14:15]
	ds_load_b128 v[12:15], v148
	ds_load_b128 v[48:51], v147
	s_waitcnt lgkmcnt(1)
	v_fma_f64 v[100:101], v[60:61], -0.5, v[12:13]
	v_add_f64 v[60:61], v[74:75], v[78:79]
	s_delay_alu instid0(VALU_DEP_1) | instskip(NEXT) | instid1(VALU_DEP_3)
	v_fma_f64 v[102:103], v[60:61], -0.5, v[14:15]
	v_fma_f64 v[60:61], v[104:105], s[10:11], v[100:101]
	v_fma_f64 v[100:101], v[104:105], s[12:13], v[100:101]
	s_delay_alu instid0(VALU_DEP_3) | instskip(SKIP_1) | instid1(VALU_DEP_4)
	v_fma_f64 v[62:63], v[108:109], s[12:13], v[102:103]
	v_fma_f64 v[102:103], v[108:109], s[10:11], v[102:103]
	;; [unrolled: 1-line block ×3, first 2 shown]
	s_delay_alu instid0(VALU_DEP_4) | instskip(NEXT) | instid1(VALU_DEP_4)
	v_fma_f64 v[100:101], v[106:107], s[6:7], v[100:101]
	v_fma_f64 v[62:63], v[110:111], s[6:7], v[62:63]
	s_delay_alu instid0(VALU_DEP_4) | instskip(NEXT) | instid1(VALU_DEP_4)
	v_fma_f64 v[102:103], v[110:111], s[2:3], v[102:103]
	v_fma_f64 v[60:61], v[64:65], s[14:15], v[60:61]
	s_delay_alu instid0(VALU_DEP_4) | instskip(SKIP_4) | instid1(VALU_DEP_4)
	v_fma_f64 v[64:65], v[64:65], s[14:15], v[100:101]
	v_add_f64 v[100:101], v[68:69], v[80:81]
	v_fma_f64 v[62:63], v[66:67], s[14:15], v[62:63]
	v_fma_f64 v[66:67], v[66:67], s[14:15], v[102:103]
	v_add_f64 v[102:103], v[70:71], v[82:83]
	v_fma_f64 v[100:101], v[100:101], -0.5, v[12:13]
	v_add_f64 v[12:13], v[12:13], v[68:69]
	v_add_f64 v[68:69], v[72:73], -v[68:69]
	s_delay_alu instid0(VALU_DEP_4) | instskip(SKIP_4) | instid1(VALU_DEP_4)
	v_fma_f64 v[102:103], v[102:103], -0.5, v[14:15]
	v_add_f64 v[14:15], v[14:15], v[70:71]
	v_add_f64 v[70:71], v[74:75], -v[70:71]
	v_add_f64 v[12:13], v[12:13], v[72:73]
	v_add_f64 v[72:73], v[76:77], -v[80:81]
	v_add_f64 v[14:15], v[14:15], v[74:75]
	v_add_f64 v[74:75], v[78:79], -v[82:83]
	s_delay_alu instid0(VALU_DEP_4)
	v_add_f64 v[12:13], v[12:13], v[76:77]
	v_fma_f64 v[76:77], v[106:107], s[12:13], v[100:101]
	v_add_f64 v[72:73], v[68:69], v[72:73]
	v_add_f64 v[14:15], v[14:15], v[78:79]
	v_fma_f64 v[78:79], v[106:107], s[10:11], v[100:101]
	v_add_f64 v[12:13], v[12:13], v[80:81]
	v_fma_f64 v[80:81], v[110:111], s[10:11], v[102:103]
	v_add_f64 v[74:75], v[70:71], v[74:75]
	v_fma_f64 v[68:69], v[104:105], s[2:3], v[76:77]
	v_add_f64 v[106:107], v[90:91], -v[94:95]
	v_add_f64 v[14:15], v[14:15], v[82:83]
	v_fma_f64 v[82:83], v[110:111], s[12:13], v[102:103]
	v_fma_f64 v[76:77], v[104:105], s[6:7], v[78:79]
	;; [unrolled: 1-line block ×3, first 2 shown]
	v_add_f64 v[104:105], v[86:87], -v[98:99]
	v_fma_f64 v[68:69], v[72:73], s[14:15], v[68:69]
	v_add_f64 v[110:111], v[88:89], -v[92:93]
	v_fma_f64 v[78:79], v[108:109], s[2:3], v[82:83]
	v_fma_f64 v[72:73], v[72:73], s[14:15], v[76:77]
	;; [unrolled: 1-line block ×3, first 2 shown]
	v_add_f64 v[76:77], v[84:85], -v[88:89]
	v_add_f64 v[108:109], v[84:85], -v[96:97]
	v_fma_f64 v[74:75], v[74:75], s[14:15], v[78:79]
	v_add_f64 v[78:79], v[96:97], -v[92:93]
	s_delay_alu instid0(VALU_DEP_1) | instskip(SKIP_2) | instid1(VALU_DEP_1)
	v_add_f64 v[80:81], v[76:77], v[78:79]
	v_add_f64 v[76:77], v[86:87], -v[90:91]
	v_add_f64 v[78:79], v[98:99], -v[94:95]
	v_add_f64 v[82:83], v[76:77], v[78:79]
	v_add_f64 v[76:77], v[88:89], v[92:93]
	s_waitcnt lgkmcnt(0)
	s_delay_alu instid0(VALU_DEP_1) | instskip(SKIP_1) | instid1(VALU_DEP_1)
	v_fma_f64 v[100:101], v[76:77], -0.5, v[48:49]
	v_add_f64 v[76:77], v[90:91], v[94:95]
	v_fma_f64 v[102:103], v[76:77], -0.5, v[50:51]
	s_delay_alu instid0(VALU_DEP_3) | instskip(SKIP_1) | instid1(VALU_DEP_3)
	v_fma_f64 v[76:77], v[104:105], s[10:11], v[100:101]
	v_fma_f64 v[100:101], v[104:105], s[12:13], v[100:101]
	;; [unrolled: 1-line block ×4, first 2 shown]
	s_delay_alu instid0(VALU_DEP_4) | instskip(NEXT) | instid1(VALU_DEP_4)
	v_fma_f64 v[76:77], v[106:107], s[2:3], v[76:77]
	v_fma_f64 v[100:101], v[106:107], s[6:7], v[100:101]
	s_delay_alu instid0(VALU_DEP_4) | instskip(NEXT) | instid1(VALU_DEP_4)
	v_fma_f64 v[78:79], v[110:111], s[6:7], v[78:79]
	v_fma_f64 v[102:103], v[110:111], s[2:3], v[102:103]
	;; [unrolled: 3-line block ×3, first 2 shown]
	v_add_f64 v[100:101], v[84:85], v[96:97]
	v_fma_f64 v[78:79], v[82:83], s[14:15], v[78:79]
	v_fma_f64 v[82:83], v[82:83], s[14:15], v[102:103]
	v_add_f64 v[102:103], v[86:87], v[98:99]
	s_delay_alu instid0(VALU_DEP_4) | instskip(SKIP_2) | instid1(VALU_DEP_4)
	v_fma_f64 v[100:101], v[100:101], -0.5, v[48:49]
	v_add_f64 v[48:49], v[48:49], v[84:85]
	v_add_f64 v[84:85], v[88:89], -v[84:85]
	v_fma_f64 v[102:103], v[102:103], -0.5, v[50:51]
	v_add_f64 v[50:51], v[50:51], v[86:87]
	v_add_f64 v[86:87], v[90:91], -v[86:87]
	v_add_f64 v[48:49], v[48:49], v[88:89]
	v_add_f64 v[88:89], v[92:93], -v[96:97]
	s_delay_alu instid0(VALU_DEP_4) | instskip(SKIP_1) | instid1(VALU_DEP_4)
	v_add_f64 v[50:51], v[50:51], v[90:91]
	v_add_f64 v[90:91], v[94:95], -v[98:99]
	v_add_f64 v[48:49], v[48:49], v[92:93]
	v_fma_f64 v[92:93], v[106:107], s[12:13], v[100:101]
	v_add_f64 v[88:89], v[84:85], v[88:89]
	v_add_f64 v[50:51], v[50:51], v[94:95]
	v_fma_f64 v[94:95], v[106:107], s[10:11], v[100:101]
	v_add_f64 v[48:49], v[48:49], v[96:97]
	v_fma_f64 v[96:97], v[110:111], s[10:11], v[102:103]
	;; [unrolled: 2-line block ×3, first 2 shown]
	v_add_f64 v[100:101], v[36:37], v[42:43]
	v_add_f64 v[50:51], v[50:51], v[98:99]
	v_fma_f64 v[98:99], v[110:111], s[12:13], v[102:103]
	v_fma_f64 v[92:93], v[104:105], s[6:7], v[94:95]
	;; [unrolled: 1-line block ×4, first 2 shown]
	s_delay_alu instid0(VALU_DEP_4) | instskip(NEXT) | instid1(VALU_DEP_4)
	v_fma_f64 v[94:95], v[108:109], s[2:3], v[98:99]
	v_fma_f64 v[88:89], v[88:89], s[14:15], v[92:93]
	s_delay_alu instid0(VALU_DEP_4) | instskip(SKIP_4) | instid1(VALU_DEP_1)
	v_fma_f64 v[86:87], v[90:91], s[14:15], v[86:87]
	v_add_f64 v[92:93], v[34:35], -v[36:37]
	ds_load_b128 v[96:99], v125
	v_fma_f64 v[90:91], v[90:91], s[14:15], v[94:95]
	v_add_f64 v[94:95], v[44:45], -v[42:43]
	v_add_f64 v[104:105], v[92:93], v[94:95]
	v_add_f64 v[92:93], v[32:33], -v[38:39]
	v_add_f64 v[94:95], v[46:47], -v[40:41]
	s_delay_alu instid0(VALU_DEP_1)
	v_add_f64 v[106:107], v[92:93], v[94:95]
	ds_load_b128 v[92:95], v138
	s_waitcnt lgkmcnt(0)
	s_barrier
	buffer_gl0_inv
	v_fma_f64 v[108:109], v[100:101], -0.5, v[92:93]
	v_add_f64 v[100:101], v[38:39], v[40:41]
	s_delay_alu instid0(VALU_DEP_1) | instskip(NEXT) | instid1(VALU_DEP_3)
	v_fma_f64 v[110:111], v[100:101], -0.5, v[94:95]
	v_fma_f64 v[100:101], v[112:113], s[10:11], v[108:109]
	v_fma_f64 v[108:109], v[112:113], s[12:13], v[108:109]
	s_delay_alu instid0(VALU_DEP_3) | instskip(SKIP_1) | instid1(VALU_DEP_4)
	v_fma_f64 v[102:103], v[116:117], s[12:13], v[110:111]
	v_fma_f64 v[110:111], v[116:117], s[10:11], v[110:111]
	;; [unrolled: 1-line block ×3, first 2 shown]
	s_delay_alu instid0(VALU_DEP_4) | instskip(NEXT) | instid1(VALU_DEP_4)
	v_fma_f64 v[108:109], v[114:115], s[6:7], v[108:109]
	v_fma_f64 v[102:103], v[118:119], s[6:7], v[102:103]
	s_delay_alu instid0(VALU_DEP_4) | instskip(NEXT) | instid1(VALU_DEP_4)
	v_fma_f64 v[110:111], v[118:119], s[2:3], v[110:111]
	v_fma_f64 v[100:101], v[104:105], s[14:15], v[100:101]
	s_delay_alu instid0(VALU_DEP_4) | instskip(SKIP_4) | instid1(VALU_DEP_4)
	v_fma_f64 v[104:105], v[104:105], s[14:15], v[108:109]
	v_add_f64 v[108:109], v[34:35], v[44:45]
	v_fma_f64 v[102:103], v[106:107], s[14:15], v[102:103]
	v_fma_f64 v[106:107], v[106:107], s[14:15], v[110:111]
	v_add_f64 v[110:111], v[32:33], v[46:47]
	v_fma_f64 v[108:109], v[108:109], -0.5, v[92:93]
	v_add_f64 v[92:93], v[92:93], v[34:35]
	s_delay_alu instid0(VALU_DEP_3) | instskip(SKIP_1) | instid1(VALU_DEP_3)
	v_fma_f64 v[110:111], v[110:111], -0.5, v[94:95]
	v_add_f64 v[94:95], v[94:95], v[32:33]
	v_add_f64 v[34:35], v[92:93], v[36:37]
	s_delay_alu instid0(VALU_DEP_3) | instskip(NEXT) | instid1(VALU_DEP_3)
	v_fma_f64 v[92:93], v[118:119], s[12:13], v[110:111]
	v_add_f64 v[36:37], v[94:95], v[38:39]
	v_add_f64 v[38:39], v[38:39], -v[32:33]
	s_delay_alu instid0(VALU_DEP_4) | instskip(NEXT) | instid1(VALU_DEP_3)
	v_add_f64 v[32:33], v[34:35], v[42:43]
	v_add_f64 v[34:35], v[36:37], v[40:41]
	v_add_f64 v[36:37], v[42:43], -v[44:45]
	s_delay_alu instid0(VALU_DEP_3)
	v_add_f64 v[32:33], v[32:33], v[44:45]
	v_add_f64 v[40:41], v[40:41], -v[46:47]
	v_fma_f64 v[44:45], v[114:115], s[10:11], v[108:109]
	v_fma_f64 v[42:43], v[114:115], s[12:13], v[108:109]
	v_add_f64 v[114:115], v[16:17], -v[30:31]
	v_add_f64 v[34:35], v[34:35], v[46:47]
	v_fma_f64 v[46:47], v[118:119], s[10:11], v[110:111]
	v_add_f64 v[94:95], v[123:124], v[36:37]
	v_add_f64 v[108:109], v[38:39], v[40:41]
	v_fma_f64 v[40:41], v[112:113], s[6:7], v[44:45]
	v_add_f64 v[44:45], v[24:25], -v[18:19]
	v_fma_f64 v[36:37], v[112:113], s[2:3], v[42:43]
	v_fma_f64 v[42:43], v[116:117], s[2:3], v[92:93]
	v_add_f64 v[112:113], v[26:27], -v[20:21]
	v_add_f64 v[118:119], v[18:19], -v[28:29]
	;; [unrolled: 1-line block ×3, first 2 shown]
	v_fma_f64 v[38:39], v[116:117], s[6:7], v[46:47]
	v_add_f64 v[46:47], v[22:23], -v[28:29]
	v_add_f64 v[116:117], v[24:25], -v[22:23]
	v_fma_f64 v[40:41], v[94:95], s[14:15], v[40:41]
	v_fma_f64 v[36:37], v[94:95], s[14:15], v[36:37]
	;; [unrolled: 1-line block ×4, first 2 shown]
	v_add_f64 v[92:93], v[44:45], v[46:47]
	v_add_f64 v[44:45], v[26:27], -v[16:17]
	v_add_f64 v[46:47], v[20:21], -v[30:31]
	s_delay_alu instid0(VALU_DEP_1) | instskip(SKIP_1) | instid1(VALU_DEP_1)
	v_add_f64 v[94:95], v[44:45], v[46:47]
	v_add_f64 v[44:45], v[18:19], v[28:29]
	v_fma_f64 v[108:109], v[44:45], -0.5, v[96:97]
	v_add_f64 v[44:45], v[16:17], v[30:31]
	s_delay_alu instid0(VALU_DEP_1) | instskip(NEXT) | instid1(VALU_DEP_3)
	v_fma_f64 v[110:111], v[44:45], -0.5, v[98:99]
	v_fma_f64 v[44:45], v[112:113], s[12:13], v[108:109]
	v_fma_f64 v[108:109], v[112:113], s[10:11], v[108:109]
	s_delay_alu instid0(VALU_DEP_3) | instskip(SKIP_1) | instid1(VALU_DEP_4)
	v_fma_f64 v[46:47], v[116:117], s[10:11], v[110:111]
	v_fma_f64 v[110:111], v[116:117], s[12:13], v[110:111]
	;; [unrolled: 1-line block ×3, first 2 shown]
	s_delay_alu instid0(VALU_DEP_4) | instskip(NEXT) | instid1(VALU_DEP_4)
	v_fma_f64 v[108:109], v[114:115], s[6:7], v[108:109]
	v_fma_f64 v[46:47], v[118:119], s[6:7], v[46:47]
	s_delay_alu instid0(VALU_DEP_4) | instskip(NEXT) | instid1(VALU_DEP_4)
	v_fma_f64 v[110:111], v[118:119], s[2:3], v[110:111]
	v_fma_f64 v[44:45], v[92:93], s[14:15], v[44:45]
	s_delay_alu instid0(VALU_DEP_4) | instskip(SKIP_4) | instid1(VALU_DEP_4)
	v_fma_f64 v[92:93], v[92:93], s[14:15], v[108:109]
	v_add_f64 v[108:109], v[24:25], v[22:23]
	v_fma_f64 v[46:47], v[94:95], s[14:15], v[46:47]
	v_fma_f64 v[94:95], v[94:95], s[14:15], v[110:111]
	v_add_f64 v[110:111], v[26:27], v[20:21]
	v_fma_f64 v[108:109], v[108:109], -0.5, v[96:97]
	v_add_f64 v[96:97], v[96:97], v[18:19]
	s_delay_alu instid0(VALU_DEP_3) | instskip(SKIP_1) | instid1(VALU_DEP_3)
	v_fma_f64 v[110:111], v[110:111], -0.5, v[98:99]
	v_add_f64 v[98:99], v[98:99], v[16:17]
	v_add_f64 v[18:19], v[96:97], v[24:25]
	s_delay_alu instid0(VALU_DEP_3) | instskip(NEXT) | instid1(VALU_DEP_3)
	v_fma_f64 v[96:97], v[118:119], s[10:11], v[110:111]
	v_add_f64 v[24:25], v[98:99], v[26:27]
	v_add_f64 v[26:27], v[16:17], -v[26:27]
	s_delay_alu instid0(VALU_DEP_4) | instskip(SKIP_1) | instid1(VALU_DEP_4)
	v_add_f64 v[16:17], v[18:19], v[22:23]
	v_add_f64 v[22:23], v[28:29], -v[22:23]
	v_add_f64 v[18:19], v[24:25], v[20:21]
	v_add_f64 v[20:21], v[30:31], -v[20:21]
	v_fma_f64 v[24:25], v[114:115], s[10:11], v[108:109]
	v_add_f64 v[16:17], v[16:17], v[28:29]
	v_fma_f64 v[28:29], v[114:115], s[12:13], v[108:109]
	v_add_f64 v[98:99], v[123:124], v[22:23]
	v_add_f64 v[18:19], v[18:19], v[30:31]
	v_fma_f64 v[30:31], v[118:119], s[12:13], v[110:111]
	v_add_f64 v[26:27], v[26:27], v[20:21]
	v_fma_f64 v[20:21], v[112:113], s[2:3], v[24:25]
	v_fma_f64 v[24:25], v[112:113], s[6:7], v[28:29]
	;; [unrolled: 1-line block ×3, first 2 shown]
	s_add_u32 s2, s4, 0x5760
	s_addc_u32 s3, s5, 0
	s_mov_b32 s4, exec_lo
	v_fma_f64 v[22:23], v[116:117], s[6:7], v[30:31]
	s_delay_alu instid0(VALU_DEP_4) | instskip(NEXT) | instid1(VALU_DEP_4)
	v_fma_f64 v[20:21], v[98:99], s[14:15], v[20:21]
	v_fma_f64 v[24:25], v[98:99], s[14:15], v[24:25]
	s_delay_alu instid0(VALU_DEP_3)
	v_fma_f64 v[22:23], v[26:27], s[14:15], v[22:23]
	v_fma_f64 v[26:27], v[26:27], s[14:15], v[28:29]
	ds_store_b128 v145, v[0:3]
	ds_store_b128 v145, v[52:55] offset:4480
	ds_store_b128 v145, v[4:7] offset:8960
	ds_store_b128 v145, v[8:11] offset:13440
	ds_store_b128 v145, v[56:59] offset:17920
	ds_store_b128 v148, v[12:15]
	ds_store_b128 v148, v[60:63] offset:4480
	ds_store_b128 v148, v[68:71] offset:8960
	ds_store_b128 v148, v[72:75] offset:13440
	ds_store_b128 v148, v[64:67] offset:17920
	;; [unrolled: 5-line block ×5, first 2 shown]
	s_waitcnt lgkmcnt(0)
	s_barrier
	buffer_gl0_inv
	ds_load_b128 v[4:7], v145
	v_lshlrev_b32_e32 v0, 4, v120
                                        ; implicit-def: $vgpr2_vgpr3
                                        ; implicit-def: $vgpr8_vgpr9
	s_delay_alu instid0(VALU_DEP_1)
	v_sub_nc_u32_e32 v10, 0, v0
	v_cmpx_ne_u32_e32 0, v120
	s_xor_b32 s4, exec_lo, s4
	s_cbranch_execz .LBB0_29
; %bb.28:
	v_mov_b32_e32 v121, 0
	s_delay_alu instid0(VALU_DEP_1) | instskip(NEXT) | instid1(VALU_DEP_1)
	v_lshlrev_b64 v[0:1], 4, v[120:121]
	v_add_co_u32 v0, s1, s2, v0
	s_delay_alu instid0(VALU_DEP_1)
	v_add_co_ci_u32_e64 v1, s1, s3, v1, s1
	global_load_b128 v[11:14], v[0:1], off
	ds_load_b128 v[0:3], v10 offset:22400
	s_waitcnt lgkmcnt(0)
	v_add_f64 v[8:9], v[4:5], -v[0:1]
	v_add_f64 v[15:16], v[6:7], v[2:3]
	v_add_f64 v[2:3], v[6:7], -v[2:3]
	v_add_f64 v[0:1], v[4:5], v[0:1]
	s_delay_alu instid0(VALU_DEP_4) | instskip(NEXT) | instid1(VALU_DEP_4)
	v_mul_f64 v[6:7], v[8:9], 0.5
	v_mul_f64 v[4:5], v[15:16], 0.5
	s_delay_alu instid0(VALU_DEP_4) | instskip(SKIP_1) | instid1(VALU_DEP_3)
	v_mul_f64 v[2:3], v[2:3], 0.5
	s_waitcnt vmcnt(0)
	v_mul_f64 v[8:9], v[6:7], v[13:14]
	s_delay_alu instid0(VALU_DEP_2) | instskip(SKIP_1) | instid1(VALU_DEP_3)
	v_fma_f64 v[15:16], v[4:5], v[13:14], v[2:3]
	v_fma_f64 v[2:3], v[4:5], v[13:14], -v[2:3]
	v_fma_f64 v[17:18], v[0:1], 0.5, v[8:9]
	v_fma_f64 v[0:1], v[0:1], 0.5, -v[8:9]
	s_delay_alu instid0(VALU_DEP_4) | instskip(NEXT) | instid1(VALU_DEP_4)
	v_fma_f64 v[8:9], -v[11:12], v[6:7], v[15:16]
	v_fma_f64 v[2:3], -v[11:12], v[6:7], v[2:3]
	s_delay_alu instid0(VALU_DEP_4) | instskip(NEXT) | instid1(VALU_DEP_4)
	v_fma_f64 v[13:14], v[4:5], v[11:12], v[17:18]
	v_fma_f64 v[0:1], -v[4:5], v[11:12], v[0:1]
                                        ; implicit-def: $vgpr4_vgpr5
	ds_store_b64 v145, v[13:14]
.LBB0_29:
	s_and_not1_saveexec_b32 s1, s4
	s_cbranch_execz .LBB0_31
; %bb.30:
	s_waitcnt lgkmcnt(0)
	v_add_f64 v[11:12], v[4:5], v[6:7]
	v_add_f64 v[0:1], v[4:5], -v[6:7]
	v_mov_b32_e32 v6, 0
	v_mov_b32_e32 v8, 0
	;; [unrolled: 1-line block ×3, first 2 shown]
	s_delay_alu instid0(VALU_DEP_2)
	v_mov_b32_e32 v2, v8
	ds_load_b64 v[4:5], v6 offset:11208
	v_mov_b32_e32 v3, v9
	s_waitcnt lgkmcnt(0)
	v_xor_b32_e32 v5, 0x80000000, v5
	ds_store_b64 v145, v[11:12]
	ds_store_b64 v6, v[4:5] offset:11208
.LBB0_31:
	s_or_b32 exec_lo, exec_lo, s1
	v_mov_b32_e32 v131, 0
	s_waitcnt lgkmcnt(0)
	s_delay_alu instid0(VALU_DEP_1) | instskip(SKIP_1) | instid1(VALU_DEP_1)
	v_lshlrev_b64 v[4:5], 4, v[130:131]
	v_mov_b32_e32 v144, v131
	v_lshlrev_b64 v[11:12], 4, v[143:144]
	s_delay_alu instid0(VALU_DEP_3) | instskip(NEXT) | instid1(VALU_DEP_1)
	v_add_co_u32 v4, s1, s2, v4
	v_add_co_ci_u32_e64 v5, s1, s3, v5, s1
	v_mov_b32_e32 v143, v131
	s_delay_alu instid0(VALU_DEP_4)
	v_add_co_u32 v11, s1, s2, v11
	global_load_b128 v[4:7], v[4:5], off
	v_add_co_ci_u32_e64 v12, s1, s3, v12, s1
	global_load_b128 v[11:14], v[11:12], off
	ds_store_b64 v145, v[8:9] offset:8
	ds_store_b128 v10, v[0:3] offset:22400
	ds_load_b128 v[0:3], v148
	ds_load_b128 v[15:18], v10 offset:21504
	s_waitcnt lgkmcnt(0)
	v_add_f64 v[8:9], v[0:1], -v[15:16]
	v_add_f64 v[19:20], v[2:3], v[17:18]
	v_add_f64 v[2:3], v[2:3], -v[17:18]
	v_add_f64 v[0:1], v[0:1], v[15:16]
	s_delay_alu instid0(VALU_DEP_4) | instskip(NEXT) | instid1(VALU_DEP_4)
	v_mul_f64 v[8:9], v[8:9], 0.5
	v_mul_f64 v[17:18], v[19:20], 0.5
	s_delay_alu instid0(VALU_DEP_4) | instskip(SKIP_1) | instid1(VALU_DEP_3)
	v_mul_f64 v[2:3], v[2:3], 0.5
	s_waitcnt vmcnt(1)
	v_mul_f64 v[15:16], v[8:9], v[6:7]
	s_delay_alu instid0(VALU_DEP_2) | instskip(SKIP_1) | instid1(VALU_DEP_3)
	v_fma_f64 v[19:20], v[17:18], v[6:7], v[2:3]
	v_fma_f64 v[6:7], v[17:18], v[6:7], -v[2:3]
	v_fma_f64 v[21:22], v[0:1], 0.5, v[15:16]
	v_fma_f64 v[15:16], v[0:1], 0.5, -v[15:16]
	s_delay_alu instid0(VALU_DEP_4) | instskip(NEXT) | instid1(VALU_DEP_4)
	v_fma_f64 v[2:3], -v[4:5], v[8:9], v[19:20]
	v_fma_f64 v[6:7], -v[4:5], v[8:9], v[6:7]
	v_lshlrev_b64 v[8:9], 4, v[142:143]
	v_mov_b32_e32 v142, v131
	s_delay_alu instid0(VALU_DEP_2) | instskip(NEXT) | instid1(VALU_DEP_1)
	v_add_co_u32 v8, s1, s2, v8
	v_add_co_ci_u32_e64 v9, s1, s3, v9, s1
	v_fma_f64 v[0:1], v[17:18], v[4:5], v[21:22]
	v_fma_f64 v[4:5], -v[17:18], v[4:5], v[15:16]
	global_load_b128 v[15:18], v[8:9], off
	ds_store_b128 v148, v[0:3]
	ds_store_b128 v10, v[4:7] offset:21504
	ds_load_b128 v[0:3], v147
	ds_load_b128 v[4:7], v10 offset:20608
	s_waitcnt lgkmcnt(0)
	v_add_f64 v[8:9], v[0:1], -v[4:5]
	v_add_f64 v[19:20], v[2:3], v[6:7]
	v_add_f64 v[2:3], v[2:3], -v[6:7]
	v_add_f64 v[0:1], v[0:1], v[4:5]
	s_delay_alu instid0(VALU_DEP_4) | instskip(NEXT) | instid1(VALU_DEP_4)
	v_mul_f64 v[6:7], v[8:9], 0.5
	v_mul_f64 v[8:9], v[19:20], 0.5
	s_delay_alu instid0(VALU_DEP_4) | instskip(SKIP_1) | instid1(VALU_DEP_3)
	v_mul_f64 v[2:3], v[2:3], 0.5
	s_waitcnt vmcnt(1)
	v_mul_f64 v[4:5], v[6:7], v[13:14]
	s_delay_alu instid0(VALU_DEP_2) | instskip(SKIP_1) | instid1(VALU_DEP_3)
	v_fma_f64 v[19:20], v[8:9], v[13:14], v[2:3]
	v_fma_f64 v[13:14], v[8:9], v[13:14], -v[2:3]
	v_fma_f64 v[21:22], v[0:1], 0.5, v[4:5]
	v_fma_f64 v[4:5], v[0:1], 0.5, -v[4:5]
	s_delay_alu instid0(VALU_DEP_4) | instskip(NEXT) | instid1(VALU_DEP_4)
	v_fma_f64 v[2:3], -v[11:12], v[6:7], v[19:20]
	v_fma_f64 v[6:7], -v[11:12], v[6:7], v[13:14]
	s_delay_alu instid0(VALU_DEP_4) | instskip(NEXT) | instid1(VALU_DEP_4)
	v_fma_f64 v[0:1], v[8:9], v[11:12], v[21:22]
	v_fma_f64 v[4:5], -v[8:9], v[11:12], v[4:5]
	v_lshlrev_b64 v[8:9], 4, v[141:142]
	v_mov_b32_e32 v141, v131
	s_delay_alu instid0(VALU_DEP_2) | instskip(NEXT) | instid1(VALU_DEP_1)
	v_add_co_u32 v8, s1, s2, v8
	v_add_co_ci_u32_e64 v9, s1, s3, v9, s1
	global_load_b128 v[11:14], v[8:9], off
	ds_store_b128 v147, v[0:3]
	ds_store_b128 v10, v[4:7] offset:20608
	ds_load_b128 v[0:3], v138
	ds_load_b128 v[4:7], v10 offset:19712
	s_waitcnt lgkmcnt(0)
	v_add_f64 v[8:9], v[0:1], -v[4:5]
	v_add_f64 v[19:20], v[2:3], v[6:7]
	v_add_f64 v[2:3], v[2:3], -v[6:7]
	v_add_f64 v[0:1], v[0:1], v[4:5]
	s_delay_alu instid0(VALU_DEP_4) | instskip(NEXT) | instid1(VALU_DEP_4)
	v_mul_f64 v[6:7], v[8:9], 0.5
	v_mul_f64 v[8:9], v[19:20], 0.5
	s_delay_alu instid0(VALU_DEP_4) | instskip(SKIP_1) | instid1(VALU_DEP_3)
	v_mul_f64 v[2:3], v[2:3], 0.5
	s_waitcnt vmcnt(1)
	v_mul_f64 v[4:5], v[6:7], v[17:18]
	s_delay_alu instid0(VALU_DEP_2) | instskip(SKIP_1) | instid1(VALU_DEP_3)
	v_fma_f64 v[19:20], v[8:9], v[17:18], v[2:3]
	v_fma_f64 v[17:18], v[8:9], v[17:18], -v[2:3]
	v_fma_f64 v[21:22], v[0:1], 0.5, v[4:5]
	v_fma_f64 v[4:5], v[0:1], 0.5, -v[4:5]
	s_delay_alu instid0(VALU_DEP_4) | instskip(NEXT) | instid1(VALU_DEP_4)
	v_fma_f64 v[2:3], -v[15:16], v[6:7], v[19:20]
	v_fma_f64 v[6:7], -v[15:16], v[6:7], v[17:18]
	s_delay_alu instid0(VALU_DEP_4) | instskip(NEXT) | instid1(VALU_DEP_4)
	v_fma_f64 v[0:1], v[8:9], v[15:16], v[21:22]
	v_fma_f64 v[4:5], -v[8:9], v[15:16], v[4:5]
	v_lshlrev_b64 v[8:9], 4, v[140:141]
	v_mov_b32_e32 v140, v131
	s_delay_alu instid0(VALU_DEP_2) | instskip(NEXT) | instid1(VALU_DEP_1)
	v_add_co_u32 v8, s1, s2, v8
	v_add_co_ci_u32_e64 v9, s1, s3, v9, s1
	global_load_b128 v[15:18], v[8:9], off
	ds_store_b128 v138, v[0:3]
	ds_store_b128 v10, v[4:7] offset:19712
	ds_load_b128 v[0:3], v125
	ds_load_b128 v[4:7], v10 offset:18816
	v_mov_b32_e32 v138, v131
	s_waitcnt lgkmcnt(0)
	v_add_f64 v[8:9], v[0:1], -v[4:5]
	v_add_f64 v[19:20], v[2:3], v[6:7]
	v_add_f64 v[2:3], v[2:3], -v[6:7]
	v_add_f64 v[0:1], v[0:1], v[4:5]
	s_delay_alu instid0(VALU_DEP_4) | instskip(NEXT) | instid1(VALU_DEP_4)
	v_mul_f64 v[6:7], v[8:9], 0.5
	v_mul_f64 v[8:9], v[19:20], 0.5
	s_delay_alu instid0(VALU_DEP_4) | instskip(SKIP_1) | instid1(VALU_DEP_3)
	v_mul_f64 v[2:3], v[2:3], 0.5
	s_waitcnt vmcnt(1)
	v_mul_f64 v[4:5], v[6:7], v[13:14]
	s_delay_alu instid0(VALU_DEP_2) | instskip(SKIP_1) | instid1(VALU_DEP_3)
	v_fma_f64 v[19:20], v[8:9], v[13:14], v[2:3]
	v_fma_f64 v[13:14], v[8:9], v[13:14], -v[2:3]
	v_fma_f64 v[21:22], v[0:1], 0.5, v[4:5]
	v_fma_f64 v[4:5], v[0:1], 0.5, -v[4:5]
	s_delay_alu instid0(VALU_DEP_4) | instskip(NEXT) | instid1(VALU_DEP_4)
	v_fma_f64 v[2:3], -v[11:12], v[6:7], v[19:20]
	v_fma_f64 v[6:7], -v[11:12], v[6:7], v[13:14]
	s_delay_alu instid0(VALU_DEP_4) | instskip(NEXT) | instid1(VALU_DEP_4)
	v_fma_f64 v[0:1], v[8:9], v[11:12], v[21:22]
	v_fma_f64 v[4:5], -v[8:9], v[11:12], v[4:5]
	v_lshlrev_b64 v[8:9], 4, v[137:138]
	v_mov_b32_e32 v137, v131
	s_delay_alu instid0(VALU_DEP_2) | instskip(NEXT) | instid1(VALU_DEP_1)
	v_add_co_u32 v8, s1, s2, v8
	v_add_co_ci_u32_e64 v9, s1, s3, v9, s1
	global_load_b128 v[11:14], v[8:9], off
	ds_store_b128 v125, v[0:3]
	ds_store_b128 v10, v[4:7] offset:18816
	ds_load_b128 v[0:3], v122
	ds_load_b128 v[4:7], v10 offset:17920
	s_waitcnt lgkmcnt(0)
	v_add_f64 v[8:9], v[0:1], -v[4:5]
	v_add_f64 v[19:20], v[2:3], v[6:7]
	v_add_f64 v[2:3], v[2:3], -v[6:7]
	v_add_f64 v[0:1], v[0:1], v[4:5]
	s_delay_alu instid0(VALU_DEP_4) | instskip(NEXT) | instid1(VALU_DEP_4)
	v_mul_f64 v[6:7], v[8:9], 0.5
	v_mul_f64 v[8:9], v[19:20], 0.5
	s_delay_alu instid0(VALU_DEP_4) | instskip(SKIP_1) | instid1(VALU_DEP_3)
	v_mul_f64 v[2:3], v[2:3], 0.5
	s_waitcnt vmcnt(1)
	v_mul_f64 v[4:5], v[6:7], v[17:18]
	s_delay_alu instid0(VALU_DEP_2) | instskip(SKIP_1) | instid1(VALU_DEP_3)
	v_fma_f64 v[19:20], v[8:9], v[17:18], v[2:3]
	v_fma_f64 v[17:18], v[8:9], v[17:18], -v[2:3]
	v_fma_f64 v[21:22], v[0:1], 0.5, v[4:5]
	v_fma_f64 v[4:5], v[0:1], 0.5, -v[4:5]
	s_delay_alu instid0(VALU_DEP_4) | instskip(NEXT) | instid1(VALU_DEP_4)
	v_fma_f64 v[2:3], -v[15:16], v[6:7], v[19:20]
	v_fma_f64 v[6:7], -v[15:16], v[6:7], v[17:18]
	s_delay_alu instid0(VALU_DEP_4) | instskip(NEXT) | instid1(VALU_DEP_4)
	v_fma_f64 v[0:1], v[8:9], v[15:16], v[21:22]
	v_fma_f64 v[4:5], -v[8:9], v[15:16], v[4:5]
	v_lshlrev_b64 v[8:9], 4, v[136:137]
	v_mov_b32_e32 v136, v131
	s_delay_alu instid0(VALU_DEP_2) | instskip(NEXT) | instid1(VALU_DEP_1)
	v_add_co_u32 v8, s1, s2, v8
	v_add_co_ci_u32_e64 v9, s1, s3, v9, s1
	global_load_b128 v[15:18], v[8:9], off
	ds_store_b128 v122, v[0:3]
	ds_store_b128 v10, v[4:7] offset:17920
	scratch_load_b32 v23, off, off offset:44 ; 4-byte Folded Reload
	s_waitcnt vmcnt(0)
	ds_load_b128 v[0:3], v23
	ds_load_b128 v[4:7], v10 offset:17024
	s_waitcnt lgkmcnt(0)
	v_add_f64 v[8:9], v[0:1], -v[4:5]
	v_add_f64 v[19:20], v[2:3], v[6:7]
	v_add_f64 v[2:3], v[2:3], -v[6:7]
	v_add_f64 v[0:1], v[0:1], v[4:5]
	s_delay_alu instid0(VALU_DEP_4) | instskip(NEXT) | instid1(VALU_DEP_4)
	v_mul_f64 v[6:7], v[8:9], 0.5
	v_mul_f64 v[8:9], v[19:20], 0.5
	s_delay_alu instid0(VALU_DEP_4) | instskip(NEXT) | instid1(VALU_DEP_3)
	v_mul_f64 v[2:3], v[2:3], 0.5
	v_mul_f64 v[4:5], v[6:7], v[13:14]
	s_delay_alu instid0(VALU_DEP_2) | instskip(SKIP_1) | instid1(VALU_DEP_3)
	v_fma_f64 v[19:20], v[8:9], v[13:14], v[2:3]
	v_fma_f64 v[13:14], v[8:9], v[13:14], -v[2:3]
	v_fma_f64 v[21:22], v[0:1], 0.5, v[4:5]
	v_fma_f64 v[4:5], v[0:1], 0.5, -v[4:5]
	s_delay_alu instid0(VALU_DEP_4) | instskip(NEXT) | instid1(VALU_DEP_4)
	v_fma_f64 v[2:3], -v[11:12], v[6:7], v[19:20]
	v_fma_f64 v[6:7], -v[11:12], v[6:7], v[13:14]
	s_delay_alu instid0(VALU_DEP_4) | instskip(NEXT) | instid1(VALU_DEP_4)
	v_fma_f64 v[0:1], v[8:9], v[11:12], v[21:22]
	v_fma_f64 v[4:5], -v[8:9], v[11:12], v[4:5]
	v_lshlrev_b64 v[8:9], 4, v[139:140]
	s_delay_alu instid0(VALU_DEP_1) | instskip(NEXT) | instid1(VALU_DEP_1)
	v_add_co_u32 v8, s1, s2, v8
	v_add_co_ci_u32_e64 v9, s1, s3, v9, s1
	global_load_b128 v[11:14], v[8:9], off
	ds_store_b128 v23, v[0:3]
	ds_store_b128 v10, v[4:7] offset:17024
	scratch_load_b32 v23, off, off offset:64 ; 4-byte Folded Reload
	s_waitcnt vmcnt(0)
	ds_load_b128 v[0:3], v23
	ds_load_b128 v[4:7], v10 offset:16128
	s_waitcnt lgkmcnt(0)
	v_add_f64 v[8:9], v[0:1], -v[4:5]
	v_add_f64 v[19:20], v[2:3], v[6:7]
	v_add_f64 v[2:3], v[2:3], -v[6:7]
	v_add_f64 v[0:1], v[0:1], v[4:5]
	s_delay_alu instid0(VALU_DEP_4) | instskip(NEXT) | instid1(VALU_DEP_4)
	v_mul_f64 v[6:7], v[8:9], 0.5
	v_mul_f64 v[8:9], v[19:20], 0.5
	s_delay_alu instid0(VALU_DEP_4) | instskip(NEXT) | instid1(VALU_DEP_3)
	v_mul_f64 v[2:3], v[2:3], 0.5
	v_mul_f64 v[4:5], v[6:7], v[17:18]
	s_delay_alu instid0(VALU_DEP_2) | instskip(SKIP_1) | instid1(VALU_DEP_3)
	v_fma_f64 v[19:20], v[8:9], v[17:18], v[2:3]
	v_fma_f64 v[17:18], v[8:9], v[17:18], -v[2:3]
	v_fma_f64 v[21:22], v[0:1], 0.5, v[4:5]
	v_fma_f64 v[4:5], v[0:1], 0.5, -v[4:5]
	s_delay_alu instid0(VALU_DEP_4) | instskip(NEXT) | instid1(VALU_DEP_4)
	v_fma_f64 v[2:3], -v[15:16], v[6:7], v[19:20]
	v_fma_f64 v[6:7], -v[15:16], v[6:7], v[17:18]
	s_delay_alu instid0(VALU_DEP_4) | instskip(NEXT) | instid1(VALU_DEP_4)
	v_fma_f64 v[0:1], v[8:9], v[15:16], v[21:22]
	v_fma_f64 v[4:5], -v[8:9], v[15:16], v[4:5]
	v_lshlrev_b64 v[8:9], 4, v[135:136]
	v_mov_b32_e32 v135, v131
	s_delay_alu instid0(VALU_DEP_2) | instskip(NEXT) | instid1(VALU_DEP_1)
	v_add_co_u32 v8, s1, s2, v8
	v_add_co_ci_u32_e64 v9, s1, s3, v9, s1
	global_load_b128 v[15:18], v[8:9], off
	ds_store_b128 v23, v[0:3]
	ds_store_b128 v10, v[4:7] offset:16128
	scratch_load_b32 v23, off, off offset:60 ; 4-byte Folded Reload
	s_waitcnt vmcnt(0)
	ds_load_b128 v[0:3], v23
	ds_load_b128 v[4:7], v10 offset:15232
	s_waitcnt lgkmcnt(0)
	v_add_f64 v[8:9], v[0:1], -v[4:5]
	v_add_f64 v[19:20], v[2:3], v[6:7]
	v_add_f64 v[2:3], v[2:3], -v[6:7]
	v_add_f64 v[0:1], v[0:1], v[4:5]
	s_delay_alu instid0(VALU_DEP_4) | instskip(NEXT) | instid1(VALU_DEP_4)
	v_mul_f64 v[6:7], v[8:9], 0.5
	v_mul_f64 v[8:9], v[19:20], 0.5
	s_delay_alu instid0(VALU_DEP_4) | instskip(NEXT) | instid1(VALU_DEP_3)
	v_mul_f64 v[2:3], v[2:3], 0.5
	v_mul_f64 v[4:5], v[6:7], v[13:14]
	s_delay_alu instid0(VALU_DEP_2) | instskip(SKIP_1) | instid1(VALU_DEP_3)
	v_fma_f64 v[19:20], v[8:9], v[13:14], v[2:3]
	v_fma_f64 v[13:14], v[8:9], v[13:14], -v[2:3]
	v_fma_f64 v[21:22], v[0:1], 0.5, v[4:5]
	v_fma_f64 v[4:5], v[0:1], 0.5, -v[4:5]
	s_delay_alu instid0(VALU_DEP_4) | instskip(NEXT) | instid1(VALU_DEP_4)
	v_fma_f64 v[2:3], -v[11:12], v[6:7], v[19:20]
	v_fma_f64 v[6:7], -v[11:12], v[6:7], v[13:14]
	s_delay_alu instid0(VALU_DEP_4) | instskip(NEXT) | instid1(VALU_DEP_4)
	v_fma_f64 v[0:1], v[8:9], v[11:12], v[21:22]
	v_fma_f64 v[4:5], -v[8:9], v[11:12], v[4:5]
	v_lshlrev_b64 v[8:9], 4, v[134:135]
	v_mov_b32_e32 v134, v131
	s_delay_alu instid0(VALU_DEP_2) | instskip(NEXT) | instid1(VALU_DEP_1)
	v_add_co_u32 v8, s1, s2, v8
	v_add_co_ci_u32_e64 v9, s1, s3, v9, s1
	global_load_b128 v[11:14], v[8:9], off
	ds_store_b128 v23, v[0:3]
	ds_store_b128 v10, v[4:7] offset:15232
	scratch_load_b32 v23, off, off offset:56 ; 4-byte Folded Reload
	s_waitcnt vmcnt(0)
	ds_load_b128 v[0:3], v23
	ds_load_b128 v[4:7], v10 offset:14336
	s_waitcnt lgkmcnt(0)
	v_add_f64 v[8:9], v[0:1], -v[4:5]
	v_add_f64 v[19:20], v[2:3], v[6:7]
	v_add_f64 v[2:3], v[2:3], -v[6:7]
	v_add_f64 v[0:1], v[0:1], v[4:5]
	s_delay_alu instid0(VALU_DEP_4) | instskip(NEXT) | instid1(VALU_DEP_4)
	v_mul_f64 v[6:7], v[8:9], 0.5
	v_mul_f64 v[8:9], v[19:20], 0.5
	s_delay_alu instid0(VALU_DEP_4) | instskip(NEXT) | instid1(VALU_DEP_3)
	v_mul_f64 v[2:3], v[2:3], 0.5
	v_mul_f64 v[4:5], v[6:7], v[17:18]
	s_delay_alu instid0(VALU_DEP_2) | instskip(SKIP_1) | instid1(VALU_DEP_3)
	v_fma_f64 v[19:20], v[8:9], v[17:18], v[2:3]
	v_fma_f64 v[17:18], v[8:9], v[17:18], -v[2:3]
	v_fma_f64 v[21:22], v[0:1], 0.5, v[4:5]
	v_fma_f64 v[4:5], v[0:1], 0.5, -v[4:5]
	s_delay_alu instid0(VALU_DEP_4) | instskip(NEXT) | instid1(VALU_DEP_4)
	v_fma_f64 v[2:3], -v[15:16], v[6:7], v[19:20]
	v_fma_f64 v[6:7], -v[15:16], v[6:7], v[17:18]
	s_delay_alu instid0(VALU_DEP_4) | instskip(NEXT) | instid1(VALU_DEP_4)
	v_fma_f64 v[0:1], v[8:9], v[15:16], v[21:22]
	v_fma_f64 v[4:5], -v[8:9], v[15:16], v[4:5]
	v_lshlrev_b64 v[8:9], 4, v[133:134]
	s_delay_alu instid0(VALU_DEP_1) | instskip(NEXT) | instid1(VALU_DEP_1)
	v_add_co_u32 v8, s1, s2, v8
	v_add_co_ci_u32_e64 v9, s1, s3, v9, s1
	global_load_b128 v[15:18], v[8:9], off
	ds_store_b128 v23, v[0:3]
	ds_store_b128 v10, v[4:7] offset:14336
	ds_load_b128 v[0:3], v126
	ds_load_b128 v[4:7], v10 offset:13440
	s_waitcnt lgkmcnt(0)
	v_add_f64 v[8:9], v[0:1], -v[4:5]
	v_add_f64 v[19:20], v[2:3], v[6:7]
	v_add_f64 v[2:3], v[2:3], -v[6:7]
	v_add_f64 v[0:1], v[0:1], v[4:5]
	s_delay_alu instid0(VALU_DEP_4) | instskip(NEXT) | instid1(VALU_DEP_4)
	v_mul_f64 v[6:7], v[8:9], 0.5
	v_mul_f64 v[8:9], v[19:20], 0.5
	s_delay_alu instid0(VALU_DEP_4) | instskip(NEXT) | instid1(VALU_DEP_3)
	v_mul_f64 v[2:3], v[2:3], 0.5
	v_mul_f64 v[4:5], v[6:7], v[13:14]
	s_delay_alu instid0(VALU_DEP_2) | instskip(SKIP_1) | instid1(VALU_DEP_3)
	v_fma_f64 v[19:20], v[8:9], v[13:14], v[2:3]
	v_fma_f64 v[13:14], v[8:9], v[13:14], -v[2:3]
	v_fma_f64 v[21:22], v[0:1], 0.5, v[4:5]
	v_fma_f64 v[4:5], v[0:1], 0.5, -v[4:5]
	s_delay_alu instid0(VALU_DEP_4) | instskip(NEXT) | instid1(VALU_DEP_4)
	v_fma_f64 v[2:3], -v[11:12], v[6:7], v[19:20]
	v_fma_f64 v[6:7], -v[11:12], v[6:7], v[13:14]
	s_delay_alu instid0(VALU_DEP_4) | instskip(NEXT) | instid1(VALU_DEP_4)
	v_fma_f64 v[0:1], v[8:9], v[11:12], v[21:22]
	v_fma_f64 v[4:5], -v[8:9], v[11:12], v[4:5]
	ds_store_b128 v126, v[0:3]
	ds_store_b128 v10, v[4:7] offset:13440
	scratch_load_b32 v19, off, off offset:48 ; 4-byte Folded Reload
	s_waitcnt vmcnt(0)
	ds_load_b128 v[0:3], v19
	ds_load_b128 v[4:7], v10 offset:12544
	s_waitcnt lgkmcnt(0)
	v_add_f64 v[8:9], v[0:1], -v[4:5]
	v_add_f64 v[11:12], v[2:3], v[6:7]
	v_add_f64 v[2:3], v[2:3], -v[6:7]
	v_add_f64 v[0:1], v[0:1], v[4:5]
	s_delay_alu instid0(VALU_DEP_4) | instskip(NEXT) | instid1(VALU_DEP_4)
	v_mul_f64 v[6:7], v[8:9], 0.5
	v_mul_f64 v[8:9], v[11:12], 0.5
	s_delay_alu instid0(VALU_DEP_4) | instskip(NEXT) | instid1(VALU_DEP_3)
	v_mul_f64 v[2:3], v[2:3], 0.5
	v_mul_f64 v[4:5], v[6:7], v[17:18]
	s_delay_alu instid0(VALU_DEP_2) | instskip(SKIP_1) | instid1(VALU_DEP_3)
	v_fma_f64 v[11:12], v[8:9], v[17:18], v[2:3]
	v_fma_f64 v[13:14], v[8:9], v[17:18], -v[2:3]
	v_fma_f64 v[17:18], v[0:1], 0.5, v[4:5]
	v_fma_f64 v[4:5], v[0:1], 0.5, -v[4:5]
	s_delay_alu instid0(VALU_DEP_4) | instskip(NEXT) | instid1(VALU_DEP_4)
	v_fma_f64 v[2:3], -v[15:16], v[6:7], v[11:12]
	v_fma_f64 v[6:7], -v[15:16], v[6:7], v[13:14]
	s_delay_alu instid0(VALU_DEP_4) | instskip(NEXT) | instid1(VALU_DEP_4)
	v_fma_f64 v[0:1], v[8:9], v[15:16], v[17:18]
	v_fma_f64 v[4:5], -v[8:9], v[15:16], v[4:5]
	ds_store_b128 v19, v[0:3]
	ds_store_b128 v10, v[4:7] offset:12544
	s_and_saveexec_b32 s1, s0
	s_cbranch_execz .LBB0_33
; %bb.32:
	scratch_load_b64 v[0:1], off, off       ; 8-byte Folded Reload
	s_waitcnt vmcnt(0)
	v_mov_b32_e32 v130, v0
	s_delay_alu instid0(VALU_DEP_1) | instskip(NEXT) | instid1(VALU_DEP_1)
	v_lshlrev_b64 v[0:1], 4, v[130:131]
	v_add_co_u32 v0, s0, s2, v0
	s_delay_alu instid0(VALU_DEP_1)
	v_add_co_ci_u32_e64 v1, s0, s3, v1, s0
	global_load_b128 v[0:3], v[0:1], off
	scratch_load_b32 v17, off, off offset:32 ; 4-byte Folded Reload
	s_waitcnt vmcnt(0)
	ds_load_b128 v[4:7], v17
	ds_load_b128 v[11:14], v10 offset:11648
	s_waitcnt lgkmcnt(0)
	v_add_f64 v[8:9], v[4:5], -v[11:12]
	v_add_f64 v[15:16], v[6:7], v[13:14]
	v_add_f64 v[6:7], v[6:7], -v[13:14]
	v_add_f64 v[4:5], v[4:5], v[11:12]
	s_delay_alu instid0(VALU_DEP_4) | instskip(NEXT) | instid1(VALU_DEP_4)
	v_mul_f64 v[8:9], v[8:9], 0.5
	v_mul_f64 v[13:14], v[15:16], 0.5
	s_delay_alu instid0(VALU_DEP_4) | instskip(NEXT) | instid1(VALU_DEP_3)
	v_mul_f64 v[6:7], v[6:7], 0.5
	v_mul_f64 v[11:12], v[8:9], v[2:3]
	s_delay_alu instid0(VALU_DEP_2) | instskip(SKIP_1) | instid1(VALU_DEP_3)
	v_fma_f64 v[15:16], v[13:14], v[2:3], v[6:7]
	v_fma_f64 v[2:3], v[13:14], v[2:3], -v[6:7]
	v_fma_f64 v[6:7], v[4:5], 0.5, v[11:12]
	v_fma_f64 v[11:12], v[4:5], 0.5, -v[11:12]
	s_delay_alu instid0(VALU_DEP_4) | instskip(NEXT) | instid1(VALU_DEP_4)
	v_fma_f64 v[4:5], -v[0:1], v[8:9], v[15:16]
	v_fma_f64 v[8:9], -v[0:1], v[8:9], v[2:3]
	s_delay_alu instid0(VALU_DEP_4) | instskip(NEXT) | instid1(VALU_DEP_4)
	v_fma_f64 v[2:3], v[13:14], v[0:1], v[6:7]
	v_fma_f64 v[6:7], -v[13:14], v[0:1], v[11:12]
	ds_store_b128 v17, v[2:5]
	ds_store_b128 v10, v[6:9] offset:11648
.LBB0_33:
	s_or_b32 exec_lo, exec_lo, s1
	s_waitcnt lgkmcnt(0)
	s_barrier
	buffer_gl0_inv
	s_and_saveexec_b32 s0, vcc_lo
	s_cbranch_execz .LBB0_36
; %bb.34:
	ds_load_b128 v[2:5], v145
	ds_load_b128 v[6:9], v145 offset:896
	ds_load_b128 v[10:13], v145 offset:1792
	;; [unrolled: 1-line block ×3, first 2 shown]
	scratch_load_b64 v[0:1], off, off offset:36 ; 8-byte Folded Reload
	v_mov_b32_e32 v121, 0
	s_delay_alu instid0(VALU_DEP_1) | instskip(SKIP_3) | instid1(VALU_DEP_2)
	v_lshlrev_b64 v[18:19], 4, v[120:121]
	s_waitcnt vmcnt(0)
	v_add_co_u32 v0, vcc_lo, s8, v0
	v_add_co_ci_u32_e32 v1, vcc_lo, s9, v1, vcc_lo
	v_add_co_u32 v42, vcc_lo, v0, v18
	s_delay_alu instid0(VALU_DEP_2)
	v_add_co_ci_u32_e32 v43, vcc_lo, v1, v19, vcc_lo
	ds_load_b128 v[18:21], v145 offset:3584
	ds_load_b128 v[22:25], v145 offset:4480
	scratch_load_b64 v[26:27], off, off offset:8 ; 8-byte Folded Reload
	s_waitcnt vmcnt(0)
	v_mov_b32_e32 v27, v121
	s_waitcnt lgkmcnt(5)
	global_store_b128 v[42:43], v[2:5], off
	s_waitcnt lgkmcnt(4)
	global_store_b128 v[42:43], v[6:9], off offset:896
	s_waitcnt lgkmcnt(3)
	global_store_b128 v[42:43], v[10:13], off offset:1792
	;; [unrolled: 2-line block ×3, first 2 shown]
	ds_load_b128 v[2:5], v145 offset:5376
	ds_load_b128 v[6:9], v145 offset:6272
	v_add_co_u32 v44, vcc_lo, 0x1000, v42
	v_add_co_ci_u32_e32 v45, vcc_lo, 0, v43, vcc_lo
	v_lshlrev_b64 v[34:35], 4, v[26:27]
	ds_load_b128 v[10:13], v145 offset:7168
	ds_load_b128 v[14:17], v145 offset:8064
	;; [unrolled: 1-line block ×4, first 2 shown]
	s_waitcnt lgkmcnt(7)
	global_store_b128 v[42:43], v[18:21], off offset:3584
	s_waitcnt lgkmcnt(6)
	global_store_b128 v[44:45], v[22:25], off offset:384
	ds_load_b128 v[18:21], v145 offset:10752
	ds_load_b128 v[22:25], v145 offset:11648
	v_add_co_u32 v46, vcc_lo, v0, v34
	v_add_co_ci_u32_e32 v47, vcc_lo, v1, v35, vcc_lo
	v_add_co_u32 v48, vcc_lo, 0x2000, v42
	v_add_co_ci_u32_e32 v49, vcc_lo, 0, v43, vcc_lo
	ds_load_b128 v[34:37], v145 offset:12544
	ds_load_b128 v[38:41], v145 offset:13440
	s_waitcnt lgkmcnt(9)
	global_store_b128 v[44:45], v[2:5], off offset:1280
	s_waitcnt lgkmcnt(8)
	global_store_b128 v[44:45], v[6:9], off offset:2176
	s_waitcnt lgkmcnt(7)
	global_store_b128 v[46:47], v[10:13], off
	s_waitcnt lgkmcnt(6)
	global_store_b128 v[44:45], v[14:17], off offset:3968
	s_waitcnt lgkmcnt(5)
	global_store_b128 v[48:49], v[26:29], off offset:768
	;; [unrolled: 2-line block ×3, first 2 shown]
	scratch_load_b64 v[2:3], off, off offset:24 ; 8-byte Folded Reload
	s_waitcnt vmcnt(0)
	v_mov_b32_e32 v3, v121
	v_add_co_u32 v44, vcc_lo, 0x3000, v42
	v_add_co_ci_u32_e32 v45, vcc_lo, 0, v43, vcc_lo
	s_delay_alu instid0(VALU_DEP_3)
	v_lshlrev_b64 v[26:27], 4, v[2:3]
	ds_load_b128 v[2:5], v145 offset:14336
	ds_load_b128 v[6:9], v145 offset:15232
	;; [unrolled: 1-line block ×3, first 2 shown]
	s_waitcnt lgkmcnt(6)
	global_store_b128 v[48:49], v[18:21], off offset:2560
	s_waitcnt lgkmcnt(5)
	global_store_b128 v[48:49], v[22:25], off offset:3456
	ds_load_b128 v[14:17], v145 offset:17024
	s_waitcnt lgkmcnt(5)
	global_store_b128 v[44:45], v[34:37], off offset:256
	s_waitcnt lgkmcnt(4)
	global_store_b128 v[44:45], v[38:41], off offset:1152
	v_add_co_u32 v38, vcc_lo, v0, v26
	v_add_co_ci_u32_e32 v39, vcc_lo, v1, v27, vcc_lo
	ds_load_b128 v[18:21], v145 offset:17920
	ds_load_b128 v[22:25], v145 offset:18816
	;; [unrolled: 1-line block ×5, first 2 shown]
	scratch_load_b64 v[46:47], off, off offset:16 ; 8-byte Folded Reload
	s_waitcnt vmcnt(0)
	v_mov_b32_e32 v47, v121
	v_add_co_u32 v40, vcc_lo, 0x4000, v42
	v_add_co_ci_u32_e32 v41, vcc_lo, 0, v43, vcc_lo
	s_waitcnt lgkmcnt(7)
	global_store_b128 v[44:45], v[6:9], off offset:2944
	s_waitcnt lgkmcnt(6)
	s_clause 0x1
	global_store_b128 v[44:45], v[10:13], off offset:3840
	global_store_b128 v[38:39], v[2:5], off
	s_waitcnt lgkmcnt(5)
	global_store_b128 v[40:41], v[14:17], off offset:640
	v_add_co_u32 v4, vcc_lo, 0x5000, v42
	v_add_co_ci_u32_e32 v5, vcc_lo, 0, v43, vcc_lo
	v_lshlrev_b64 v[2:3], 4, v[46:47]
	s_delay_alu instid0(VALU_DEP_1) | instskip(NEXT) | instid1(VALU_DEP_2)
	v_add_co_u32 v2, vcc_lo, v0, v2
	v_add_co_ci_u32_e32 v3, vcc_lo, v1, v3, vcc_lo
	v_cmp_eq_u32_e32 vcc_lo, 55, v120
	s_waitcnt lgkmcnt(4)
	global_store_b128 v[40:41], v[18:21], off offset:1536
	s_waitcnt lgkmcnt(3)
	global_store_b128 v[40:41], v[22:25], off offset:2432
	;; [unrolled: 2-line block ×4, first 2 shown]
	s_waitcnt lgkmcnt(0)
	global_store_b128 v[2:3], v[34:37], off
	s_and_b32 exec_lo, exec_lo, vcc_lo
	s_cbranch_execz .LBB0_36
; %bb.35:
	ds_load_b128 v[2:5], v121 offset:22400
	v_add_co_u32 v0, vcc_lo, 0x5000, v0
	v_add_co_ci_u32_e32 v1, vcc_lo, 0, v1, vcc_lo
	s_waitcnt lgkmcnt(0)
	global_store_b128 v[0:1], v[2:5], off offset:1920
.LBB0_36:
	s_nop 0
	s_sendmsg sendmsg(MSG_DEALLOC_VGPRS)
	s_endpgm
	.section	.rodata,"a",@progbits
	.p2align	6, 0x0
	.amdhsa_kernel fft_rtc_back_len1400_factors_2_2_2_5_7_5_wgs_56_tpt_56_halfLds_dp_ip_CI_unitstride_sbrr_R2C_dirReg
		.amdhsa_group_segment_fixed_size 0
		.amdhsa_private_segment_fixed_size 72
		.amdhsa_kernarg_size 88
		.amdhsa_user_sgpr_count 15
		.amdhsa_user_sgpr_dispatch_ptr 0
		.amdhsa_user_sgpr_queue_ptr 0
		.amdhsa_user_sgpr_kernarg_segment_ptr 1
		.amdhsa_user_sgpr_dispatch_id 0
		.amdhsa_user_sgpr_private_segment_size 0
		.amdhsa_wavefront_size32 1
		.amdhsa_uses_dynamic_stack 0
		.amdhsa_enable_private_segment 1
		.amdhsa_system_sgpr_workgroup_id_x 1
		.amdhsa_system_sgpr_workgroup_id_y 0
		.amdhsa_system_sgpr_workgroup_id_z 0
		.amdhsa_system_sgpr_workgroup_info 0
		.amdhsa_system_vgpr_workitem_id 0
		.amdhsa_next_free_vgpr 256
		.amdhsa_next_free_sgpr 28
		.amdhsa_reserve_vcc 1
		.amdhsa_float_round_mode_32 0
		.amdhsa_float_round_mode_16_64 0
		.amdhsa_float_denorm_mode_32 3
		.amdhsa_float_denorm_mode_16_64 3
		.amdhsa_dx10_clamp 1
		.amdhsa_ieee_mode 1
		.amdhsa_fp16_overflow 0
		.amdhsa_workgroup_processor_mode 1
		.amdhsa_memory_ordered 1
		.amdhsa_forward_progress 0
		.amdhsa_shared_vgpr_count 0
		.amdhsa_exception_fp_ieee_invalid_op 0
		.amdhsa_exception_fp_denorm_src 0
		.amdhsa_exception_fp_ieee_div_zero 0
		.amdhsa_exception_fp_ieee_overflow 0
		.amdhsa_exception_fp_ieee_underflow 0
		.amdhsa_exception_fp_ieee_inexact 0
		.amdhsa_exception_int_div_zero 0
	.end_amdhsa_kernel
	.text
.Lfunc_end0:
	.size	fft_rtc_back_len1400_factors_2_2_2_5_7_5_wgs_56_tpt_56_halfLds_dp_ip_CI_unitstride_sbrr_R2C_dirReg, .Lfunc_end0-fft_rtc_back_len1400_factors_2_2_2_5_7_5_wgs_56_tpt_56_halfLds_dp_ip_CI_unitstride_sbrr_R2C_dirReg
                                        ; -- End function
	.section	.AMDGPU.csdata,"",@progbits
; Kernel info:
; codeLenInByte = 23572
; NumSgprs: 30
; NumVgprs: 256
; ScratchSize: 72
; MemoryBound: 0
; FloatMode: 240
; IeeeMode: 1
; LDSByteSize: 0 bytes/workgroup (compile time only)
; SGPRBlocks: 3
; VGPRBlocks: 31
; NumSGPRsForWavesPerEU: 30
; NumVGPRsForWavesPerEU: 256
; Occupancy: 5
; WaveLimiterHint : 1
; COMPUTE_PGM_RSRC2:SCRATCH_EN: 1
; COMPUTE_PGM_RSRC2:USER_SGPR: 15
; COMPUTE_PGM_RSRC2:TRAP_HANDLER: 0
; COMPUTE_PGM_RSRC2:TGID_X_EN: 1
; COMPUTE_PGM_RSRC2:TGID_Y_EN: 0
; COMPUTE_PGM_RSRC2:TGID_Z_EN: 0
; COMPUTE_PGM_RSRC2:TIDIG_COMP_CNT: 0
	.text
	.p2alignl 7, 3214868480
	.fill 96, 4, 3214868480
	.type	__hip_cuid_52d9c4a47b5b5986,@object ; @__hip_cuid_52d9c4a47b5b5986
	.section	.bss,"aw",@nobits
	.globl	__hip_cuid_52d9c4a47b5b5986
__hip_cuid_52d9c4a47b5b5986:
	.byte	0                               ; 0x0
	.size	__hip_cuid_52d9c4a47b5b5986, 1

	.ident	"AMD clang version 19.0.0git (https://github.com/RadeonOpenCompute/llvm-project roc-6.4.0 25133 c7fe45cf4b819c5991fe208aaa96edf142730f1d)"
	.section	".note.GNU-stack","",@progbits
	.addrsig
	.addrsig_sym __hip_cuid_52d9c4a47b5b5986
	.amdgpu_metadata
---
amdhsa.kernels:
  - .args:
      - .actual_access:  read_only
        .address_space:  global
        .offset:         0
        .size:           8
        .value_kind:     global_buffer
      - .offset:         8
        .size:           8
        .value_kind:     by_value
      - .actual_access:  read_only
        .address_space:  global
        .offset:         16
        .size:           8
        .value_kind:     global_buffer
      - .actual_access:  read_only
        .address_space:  global
        .offset:         24
        .size:           8
        .value_kind:     global_buffer
      - .offset:         32
        .size:           8
        .value_kind:     by_value
      - .actual_access:  read_only
        .address_space:  global
        .offset:         40
        .size:           8
        .value_kind:     global_buffer
      - .actual_access:  read_only
        .address_space:  global
        .offset:         48
        .size:           8
        .value_kind:     global_buffer
      - .offset:         56
        .size:           4
        .value_kind:     by_value
      - .actual_access:  read_only
        .address_space:  global
        .offset:         64
        .size:           8
        .value_kind:     global_buffer
      - .actual_access:  read_only
        .address_space:  global
        .offset:         72
        .size:           8
        .value_kind:     global_buffer
      - .address_space:  global
        .offset:         80
        .size:           8
        .value_kind:     global_buffer
    .group_segment_fixed_size: 0
    .kernarg_segment_align: 8
    .kernarg_segment_size: 88
    .language:       OpenCL C
    .language_version:
      - 2
      - 0
    .max_flat_workgroup_size: 56
    .name:           fft_rtc_back_len1400_factors_2_2_2_5_7_5_wgs_56_tpt_56_halfLds_dp_ip_CI_unitstride_sbrr_R2C_dirReg
    .private_segment_fixed_size: 72
    .sgpr_count:     30
    .sgpr_spill_count: 0
    .symbol:         fft_rtc_back_len1400_factors_2_2_2_5_7_5_wgs_56_tpt_56_halfLds_dp_ip_CI_unitstride_sbrr_R2C_dirReg.kd
    .uniform_work_group_size: 1
    .uses_dynamic_stack: false
    .vgpr_count:     256
    .vgpr_spill_count: 25
    .wavefront_size: 32
    .workgroup_processor_mode: 1
amdhsa.target:   amdgcn-amd-amdhsa--gfx1100
amdhsa.version:
  - 1
  - 2
...

	.end_amdgpu_metadata
